;; amdgpu-corpus repo=zjin-lcf/HeCBench kind=compiled arch=gfx90a opt=O3
	.text
	.amdgcn_target "amdgcn-amd-amdhsa--gfx90a"
	.amdhsa_code_object_version 6
	.protected	_Z8loss_bwdI6__halfS0_EvPKT_PKT0_S6_PKlS3_S8_PS4_ ; -- Begin function _Z8loss_bwdI6__halfS0_EvPKT_PKT0_S6_PKlS3_S8_PS4_
	.globl	_Z8loss_bwdI6__halfS0_EvPKT_PKT0_S6_PKlS3_S8_PS4_
	.p2align	8
	.type	_Z8loss_bwdI6__halfS0_EvPKT_PKT0_S6_PKlS3_S8_PS4_,@function
_Z8loss_bwdI6__halfS0_EvPKT_PKT0_S6_PKlS3_S8_PS4_: ; @_Z8loss_bwdI6__halfS0_EvPKT_PKT0_S6_PKlS3_S8_PS4_
; %bb.0:
	v_lshl_add_u32 v0, s6, 6, v0
	s_movk_i32 s0, 0x221c
	v_cmp_gt_i32_e32 vcc, s0, v0
	s_and_saveexec_b64 s[0:1], vcc
	s_cbranch_execz .LBB0_4
; %bb.1:
	s_load_dwordx4 s[0:3], s[4:5], 0x0
	s_load_dwordx8 s[8:15], s[4:5], 0x18
	s_mul_i32 s6, s7, 0x221c
	v_add_u32_e32 v2, s6, v0
	v_ashrrev_i32_e32 v3, 31, v2
	v_lshlrev_b64 v[4:5], 3, v[2:3]
	s_waitcnt lgkmcnt(0)
	v_mov_b32_e32 v1, s9
	v_add_co_u32_e32 v0, vcc, s8, v4
	v_addc_co_u32_e32 v1, vcc, v1, v5, vcc
	global_load_dwordx2 v[0:1], v[0:1], off
	s_waitcnt vmcnt(0)
	v_mov_b32_e32 v1, s13
	v_add_co_u32_e32 v4, vcc, s12, v4
	v_addc_co_u32_e32 v5, vcc, v1, v5, vcc
	global_load_dwordx2 v[6:7], v[4:5], off
	v_lshlrev_b64 v[4:5], 1, v[2:3]
	v_mov_b32_e32 v1, s3
	v_add_co_u32_e32 v8, vcc, s2, v4
	v_addc_co_u32_e32 v9, vcc, v1, v5, vcc
	global_load_ushort v16, v[8:9], off
	s_waitcnt vmcnt(1)
	v_cmp_ne_u64_e32 vcc, 0, v[6:7]
	s_and_saveexec_b64 s[2:3], vcc
	s_cbranch_execz .LBB0_3
; %bb.2:
	s_load_dwordx2 s[4:5], s[4:5], 0x10
	s_waitcnt lgkmcnt(0)
	v_mov_b32_e32 v1, s5
	v_add_co_u32_e32 v6, vcc, s4, v4
	v_addc_co_u32_e32 v7, vcc, v1, v5, vcc
	global_load_ushort v1, v[6:7], off
	s_waitcnt vmcnt(0)
	v_add_f16_e32 v16, v16, v1
.LBB0_3:
	s_or_b64 exec, exec, s[2:3]
	s_mul_i32 s7, s7, 0xaa8c0
	v_add_u32_e32 v2, s7, v2
	s_movk_i32 s2, 0x221c
	v_mad_u64_u32 v[6:7], s[2:3], v0, s2, v[2:3]
	v_mov_b32_e32 v1, s11
	v_add_co_u32_e32 v4, vcc, s10, v4
	v_addc_co_u32_e32 v5, vcc, v1, v5, vcc
	v_ashrrev_i32_e32 v7, 31, v6
	global_load_ushort v17, v[4:5], off
	v_lshlrev_b64 v[4:5], 1, v[6:7]
	v_mov_b32_e32 v1, s1
	v_add_co_u32_e32 v4, vcc, s0, v4
	v_ashrrev_i32_e32 v3, 31, v2
	v_addc_co_u32_e32 v5, vcc, v1, v5, vcc
	v_lshlrev_b64 v[6:7], 1, v[2:3]
	v_add_u32_e32 v8, 0x221c, v2
	v_add_co_u32_e32 v10, vcc, s0, v6
	v_ashrrev_i32_e32 v9, 31, v8
	v_addc_co_u32_e32 v11, vcc, v1, v7, vcc
	v_lshlrev_b64 v[8:9], 1, v[8:9]
	v_add_co_u32_e32 v12, vcc, s0, v8
	v_addc_co_u32_e32 v13, vcc, v1, v9, vcc
	global_load_ushort v22, v[4:5], off
	global_load_ushort v23, v[10:11], off
	;; [unrolled: 1-line block ×3, first 2 shown]
	v_add_u32_e32 v4, 0x4438, v2
	v_ashrrev_i32_e32 v5, 31, v4
	v_lshlrev_b64 v[10:11], 1, v[4:5]
	v_add_co_u32_e32 v4, vcc, s0, v10
	v_addc_co_u32_e32 v5, vcc, v1, v11, vcc
	global_load_ushort v26, v[4:5], off
	v_add_u32_e32 v4, 0x6654, v2
	v_ashrrev_i32_e32 v5, 31, v4
	v_lshlrev_b64 v[14:15], 1, v[4:5]
	v_add_co_u32_e32 v4, vcc, s0, v14
	v_addc_co_u32_e32 v5, vcc, v1, v15, vcc
	global_load_ushort v27, v[4:5], off
	v_add_u32_e32 v4, 0x8870, v2
	v_ashrrev_i32_e32 v5, 31, v4
	v_lshlrev_b64 v[12:13], 1, v[4:5]
	v_add_co_u32_e32 v4, vcc, s0, v12
	v_addc_co_u32_e32 v5, vcc, v1, v13, vcc
	global_load_ushort v28, v[4:5], off
	v_add_u32_e32 v4, 0xaa8c, v2
	v_ashrrev_i32_e32 v5, 31, v4
	v_lshlrev_b64 v[4:5], 1, v[4:5]
	v_add_co_u32_e32 v18, vcc, s0, v4
	v_addc_co_u32_e32 v19, vcc, v1, v5, vcc
	global_load_ushort v29, v[18:19], off
	v_add_u32_e32 v18, 0xcca8, v2
	v_mov_b32_e32 v3, s15
	v_ashrrev_i32_e32 v19, 31, v18
	v_add_co_u32_e32 v20, vcc, s14, v6
	v_addc_co_u32_e32 v21, vcc, v3, v7, vcc
	v_lshlrev_b64 v[6:7], 1, v[18:19]
	v_add_co_u32_e32 v18, vcc, s0, v6
	v_addc_co_u32_e32 v19, vcc, v1, v7, vcc
	global_load_ushort v18, v[18:19], off
	v_cmp_eq_u32_e32 vcc, 0, v0
	s_movk_i32 s1, 0x41
	s_waitcnt vmcnt(8)
	v_mul_f16_e64 v24, v17, -v16
	s_waitcnt vmcnt(6)
	v_cvt_f32_f16_e32 v16, v23
	s_waitcnt vmcnt(5)
	v_cvt_f32_f16_e32 v17, v25
	v_mul_f16_e32 v25, v24, v22
	v_mul_f32_e32 v16, 0x3fb8aa3b, v16
	v_exp_f32_e32 v16, v16
	v_mul_f32_e32 v17, 0x3fb8aa3b, v17
	v_exp_f32_e32 v17, v17
	v_cvt_f16_f32_e32 v16, v16
	s_waitcnt vmcnt(4)
	v_cvt_f32_f16_e32 v19, v26
	v_cvt_f16_f32_e32 v17, v17
	v_cvt_f32_f16_e32 v26, v25
	v_cvt_f32_f16_e32 v22, v16
	v_mul_f32_e32 v19, 0x3fb8aa3b, v19
	v_exp_f32_e32 v19, v19
	v_cvt_f32_f16_e32 v23, v17
	v_fma_mix_f32 v16, -v25, v16, v24 op_sel_hi:[1,1,1]
	v_mul_f32_e64 v22, v26, -v22
	v_cndmask_b32_e32 v16, v22, v16, vcc
	v_cvt_f16_f32_e32 v19, v19
	v_cvt_f16_f32_e32 v16, v16
	v_fma_mix_f32 v17, -v25, v17, v24 op_sel_hi:[1,1,1]
	v_mul_f32_e64 v23, v26, -v23
	v_cmp_eq_u32_e32 vcc, 1, v0
	v_cndmask_b32_e32 v17, v23, v17, vcc
	v_cvt_f16_f32_e32 v17, v17
	global_store_short v[20:21], v16, off
	v_cvt_f32_f16_e32 v16, v19
	s_waitcnt vmcnt(4)
	v_cvt_f32_f16_e32 v20, v27
	v_add_co_u32_e32 v8, vcc, s14, v8
	v_addc_co_u32_e32 v9, vcc, v3, v9, vcc
	global_store_short v[8:9], v17, off
	v_mul_f32_e64 v9, v26, -v16
	v_mul_f32_e32 v16, 0x3fb8aa3b, v20
	v_exp_f32_e32 v16, v16
	v_fma_mix_f32 v8, -v25, v19, v24 op_sel_hi:[1,1,1]
	v_cmp_eq_u32_e32 vcc, 2, v0
	v_cndmask_b32_e32 v8, v9, v8, vcc
	v_cvt_f16_f32_e32 v17, v8
	v_cvt_f16_f32_e32 v16, v16
	v_add_co_u32_e32 v8, vcc, s14, v10
	s_waitcnt vmcnt(4)
	v_cvt_f32_f16_e32 v10, v28
	v_addc_co_u32_e32 v9, vcc, v3, v11, vcc
	global_store_short v[8:9], v17, off
	v_cvt_f32_f16_e32 v8, v16
	v_mul_f32_e32 v10, 0x3fb8aa3b, v10
	v_exp_f32_e32 v10, v10
	v_fma_mix_f32 v9, -v25, v16, v24 op_sel_hi:[1,1,1]
	v_mul_f32_e64 v8, v26, -v8
	v_cmp_eq_u32_e32 vcc, 3, v0
	v_cndmask_b32_e32 v11, v8, v9, vcc
	v_cvt_f16_f32_e32 v11, v11
	v_cvt_f16_f32_e32 v10, v10
	v_add_co_u32_e32 v8, vcc, s14, v14
	s_waitcnt vmcnt(4)
	v_cvt_f32_f16_e32 v16, v29
	v_addc_co_u32_e32 v9, vcc, v3, v15, vcc
	global_store_short v[8:9], v11, off
	v_add_u32_e32 v8, 0xeec4, v2
	v_cvt_f32_f16_e32 v14, v10
	v_ashrrev_i32_e32 v9, 31, v8
	v_lshlrev_b64 v[8:9], 1, v[8:9]
	v_mul_f32_e32 v15, 0x3fb8aa3b, v16
	v_fma_mix_f32 v16, -v25, v10, v24 op_sel_hi:[1,1,1]
	v_add_co_u32_e32 v10, vcc, s0, v8
	v_addc_co_u32_e32 v11, vcc, v1, v9, vcc
	v_mul_f32_e64 v14, v26, -v14
	global_load_ushort v27, v[10:11], off
	v_cmp_eq_u32_e32 vcc, 4, v0
	v_cndmask_b32_e32 v10, v14, v16, vcc
	v_exp_f32_e32 v15, v15
	v_cvt_f16_f32_e32 v16, v10
	v_add_u32_e32 v10, 0x110e0, v2
	v_ashrrev_i32_e32 v11, 31, v10
	v_lshlrev_b64 v[10:11], 1, v[10:11]
	v_add_co_u32_e32 v14, vcc, s0, v10
	v_cvt_f16_f32_e32 v17, v15
	v_addc_co_u32_e32 v15, vcc, v1, v11, vcc
	global_load_ushort v32, v[14:15], off
	v_cvt_f32_f16_e32 v19, v17
	v_add_co_u32_e32 v12, vcc, s14, v12
	v_addc_co_u32_e32 v13, vcc, v3, v13, vcc
	global_store_short v[12:13], v16, off
	v_fma_mix_f32 v12, -v25, v17, v24 op_sel_hi:[1,1,1]
	v_mul_f32_e64 v13, v26, -v19
	v_cmp_eq_u32_e32 vcc, 5, v0
	v_cndmask_b32_e32 v14, v13, v12, vcc
	v_add_u32_e32 v12, 0x132fc, v2
	v_ashrrev_i32_e32 v13, 31, v12
	v_lshlrev_b64 v[16:17], 1, v[12:13]
	v_add_co_u32_e32 v12, vcc, s0, v16
	v_addc_co_u32_e32 v13, vcc, v1, v17, vcc
	global_load_ushort v33, v[12:13], off
	v_add_co_u32_e32 v22, vcc, s14, v4
	v_add_u32_e32 v4, 0x15518, v2
	v_addc_co_u32_e32 v23, vcc, v3, v5, vcc
	v_ashrrev_i32_e32 v5, 31, v4
	s_waitcnt vmcnt(8)
	v_cvt_f32_f16_e32 v15, v18
	v_lshlrev_b64 v[18:19], 1, v[4:5]
	v_add_co_u32_e32 v4, vcc, s0, v18
	v_addc_co_u32_e32 v5, vcc, v1, v19, vcc
	global_load_ushort v35, v[4:5], off
	v_add_u32_e32 v4, 0x17734, v2
	v_ashrrev_i32_e32 v5, 31, v4
	v_lshlrev_b64 v[20:21], 1, v[4:5]
	v_add_co_u32_e32 v4, vcc, s0, v20
	v_addc_co_u32_e32 v5, vcc, v1, v21, vcc
	global_load_ushort v38, v[4:5], off
	v_add_u32_e32 v4, 0x19950, v2
	v_ashrrev_i32_e32 v5, 31, v4
	v_mul_f32_e32 v12, 0x3fb8aa3b, v15
	v_cvt_f16_f32_e32 v36, v14
	v_lshlrev_b64 v[14:15], 1, v[4:5]
	v_add_co_u32_e32 v4, vcc, s0, v14
	v_addc_co_u32_e32 v5, vcc, v1, v15, vcc
	global_load_ushort v39, v[4:5], off
	v_exp_f32_e32 v12, v12
	v_add_u32_e32 v4, 0x1bb6c, v2
	v_ashrrev_i32_e32 v5, 31, v4
	v_cvt_f16_f32_e32 v34, v12
	v_lshlrev_b64 v[12:13], 1, v[4:5]
	v_add_u32_e32 v4, 0x1dd88, v2
	v_add_co_u32_e32 v28, vcc, s0, v12
	v_ashrrev_i32_e32 v5, 31, v4
	v_addc_co_u32_e32 v29, vcc, v1, v13, vcc
	v_lshlrev_b64 v[4:5], 1, v[4:5]
	v_add_co_u32_e32 v30, vcc, s0, v4
	v_addc_co_u32_e32 v31, vcc, v1, v5, vcc
	global_load_ushort v40, v[28:29], off
	global_load_ushort v41, v[30:31], off
	s_waitcnt vmcnt(8)
	v_cvt_f32_f16_e32 v27, v27
	v_cvt_f32_f16_e32 v37, v34
	global_store_short v[22:23], v36, off
	v_fma_mix_f32 v22, -v25, v34, v24 op_sel_hi:[1,1,1]
	v_mul_f32_e32 v27, 0x3fb8aa3b, v27
	v_mul_f32_e64 v23, v26, -v37
	v_exp_f32_e32 v27, v27
	v_cmp_eq_u32_e32 vcc, 6, v0
	v_cndmask_b32_e32 v22, v23, v22, vcc
	v_cvt_f16_f32_e32 v22, v22
	v_cvt_f16_f32_e32 v23, v27
	v_add_co_u32_e32 v6, vcc, s14, v6
	s_waitcnt vmcnt(8)
	v_cvt_f32_f16_e32 v28, v32
	v_addc_co_u32_e32 v7, vcc, v3, v7, vcc
	global_store_short v[6:7], v22, off
	v_mul_f32_e32 v22, 0x3fb8aa3b, v28
	v_exp_f32_e32 v22, v22
	v_cvt_f32_f16_e32 v27, v23
	v_fma_mix_f32 v6, -v25, v23, v24 op_sel_hi:[1,1,1]
	v_cmp_eq_u32_e32 vcc, 7, v0
	v_cvt_f16_f32_e32 v22, v22
	v_mul_f32_e64 v7, v26, -v27
	v_cndmask_b32_e32 v6, v7, v6, vcc
	v_cvt_f16_f32_e32 v23, v6
	v_add_co_u32_e32 v6, vcc, s14, v8
	v_addc_co_u32_e32 v7, vcc, v3, v9, vcc
	v_cvt_f32_f16_e32 v8, v22
	s_waitcnt vmcnt(7)
	v_cvt_f32_f16_e32 v9, v33
	global_store_short v[6:7], v23, off
	v_fma_mix_f32 v6, -v25, v22, v24 op_sel_hi:[1,1,1]
	v_mul_f32_e64 v7, v26, -v8
	v_mul_f32_e32 v8, 0x3fb8aa3b, v9
	v_exp_f32_e32 v8, v8
	v_cmp_eq_u32_e32 vcc, 8, v0
	v_cndmask_b32_e32 v6, v7, v6, vcc
	v_cvt_f16_f32_e32 v9, v6
	v_add_co_u32_e32 v6, vcc, s14, v10
	v_cvt_f16_f32_e32 v8, v8
	v_addc_co_u32_e32 v7, vcc, v3, v11, vcc
	s_waitcnt vmcnt(7)
	v_cvt_f32_f16_e32 v11, v35
	v_cvt_f32_f16_e32 v10, v8
	global_store_short v[6:7], v9, off
	v_fma_mix_f32 v6, -v25, v8, v24 op_sel_hi:[1,1,1]
	v_mul_f32_e32 v8, 0x3fb8aa3b, v11
	v_exp_f32_e32 v8, v8
	v_mul_f32_e64 v7, v26, -v10
	v_cmp_eq_u32_e32 vcc, 9, v0
	v_cndmask_b32_e32 v6, v7, v6, vcc
	v_cvt_f16_f32_e32 v8, v8
	v_cvt_f16_f32_e32 v9, v6
	s_waitcnt vmcnt(7)
	v_cvt_f32_f16_e32 v11, v38
	v_add_co_u32_e32 v6, vcc, s14, v16
	v_addc_co_u32_e32 v7, vcc, v3, v17, vcc
	v_cvt_f32_f16_e32 v10, v8
	global_store_short v[6:7], v9, off
	v_fma_mix_f32 v6, -v25, v8, v24 op_sel_hi:[1,1,1]
	v_mul_f32_e32 v8, 0x3fb8aa3b, v11
	v_exp_f32_e32 v8, v8
	v_mul_f32_e64 v7, v26, -v10
	v_cmp_eq_u32_e32 vcc, 10, v0
	v_cndmask_b32_e32 v6, v7, v6, vcc
	v_cvt_f16_f32_e32 v9, v6
	v_cvt_f16_f32_e32 v8, v8
	v_add_co_u32_e32 v6, vcc, s14, v18
	s_waitcnt vmcnt(7)
	v_cvt_f32_f16_e32 v10, v39
	v_addc_co_u32_e32 v7, vcc, v3, v19, vcc
	global_store_short v[6:7], v9, off
	v_cvt_f32_f16_e32 v6, v8
	v_fma_mix_f32 v7, -v25, v8, v24 op_sel_hi:[1,1,1]
	v_mul_f32_e32 v8, 0x3fb8aa3b, v10
	v_exp_f32_e32 v8, v8
	v_mul_f32_e64 v6, v26, -v6
	v_cmp_eq_u32_e32 vcc, 11, v0
	v_cndmask_b32_e32 v9, v6, v7, vcc
	v_cvt_f16_f32_e32 v9, v9
	v_cvt_f16_f32_e32 v8, v8
	v_add_co_u32_e32 v6, vcc, s14, v20
	v_addc_co_u32_e32 v7, vcc, v3, v21, vcc
	s_waitcnt vmcnt(7)
	v_cvt_f32_f16_e32 v10, v40
	global_store_short v[6:7], v9, off
	v_add_u32_e32 v6, 0x1ffa4, v2
	v_cvt_f32_f16_e32 v11, v8
	v_ashrrev_i32_e32 v7, 31, v6
	v_fma_mix_f32 v16, -v25, v8, v24 op_sel_hi:[1,1,1]
	v_lshlrev_b64 v[8:9], 1, v[6:7]
	v_add_co_u32_e32 v6, vcc, s0, v8
	v_mul_f32_e32 v10, 0x3fb8aa3b, v10
	v_addc_co_u32_e32 v7, vcc, v1, v9, vcc
	v_exp_f32_e32 v10, v10
	v_mul_f32_e64 v11, v26, -v11
	global_load_ushort v27, v[6:7], off
	v_cmp_eq_u32_e32 vcc, 12, v0
	v_cndmask_b32_e32 v6, v11, v16, vcc
	v_cvt_f16_f32_e32 v16, v6
	v_add_u32_e32 v6, 0x221c0, v2
	v_ashrrev_i32_e32 v7, 31, v6
	v_cvt_f16_f32_e32 v17, v10
	v_lshlrev_b64 v[10:11], 1, v[6:7]
	v_add_co_u32_e32 v6, vcc, s0, v10
	v_addc_co_u32_e32 v7, vcc, v1, v11, vcc
	global_load_ushort v32, v[6:7], off
	v_cvt_f32_f16_e32 v18, v17
	v_add_co_u32_e32 v6, vcc, s14, v14
	v_addc_co_u32_e32 v7, vcc, v3, v15, vcc
	global_store_short v[6:7], v16, off
	v_fma_mix_f32 v6, -v25, v17, v24 op_sel_hi:[1,1,1]
	v_mul_f32_e64 v7, v26, -v18
	v_cmp_eq_u32_e32 vcc, 13, v0
	v_cndmask_b32_e32 v14, v7, v6, vcc
	v_add_u32_e32 v6, 0x243dc, v2
	s_waitcnt vmcnt(10)
	v_cvt_f32_f16_e32 v15, v41
	v_ashrrev_i32_e32 v7, 31, v6
	v_lshlrev_b64 v[16:17], 1, v[6:7]
	v_add_co_u32_e32 v6, vcc, s0, v16
	v_addc_co_u32_e32 v7, vcc, v1, v17, vcc
	global_load_ushort v33, v[6:7], off
	v_mul_f32_e32 v6, 0x3fb8aa3b, v15
	v_exp_f32_e32 v6, v6
	v_add_co_u32_e32 v22, vcc, s14, v12
	v_addc_co_u32_e32 v23, vcc, v3, v13, vcc
	v_cvt_f16_f32_e32 v34, v6
	v_add_u32_e32 v6, 0x265f8, v2
	v_ashrrev_i32_e32 v7, 31, v6
	v_lshlrev_b64 v[18:19], 1, v[6:7]
	v_add_co_u32_e32 v6, vcc, s0, v18
	v_addc_co_u32_e32 v7, vcc, v1, v19, vcc
	global_load_ushort v35, v[6:7], off
	v_add_u32_e32 v6, 0x28814, v2
	v_ashrrev_i32_e32 v7, 31, v6
	v_lshlrev_b64 v[20:21], 1, v[6:7]
	v_add_co_u32_e32 v6, vcc, s0, v20
	v_addc_co_u32_e32 v7, vcc, v1, v21, vcc
	global_load_ushort v38, v[6:7], off
	v_add_u32_e32 v6, 0x2aa30, v2
	v_ashrrev_i32_e32 v7, 31, v6
	v_cvt_f16_f32_e32 v36, v14
	v_lshlrev_b64 v[14:15], 1, v[6:7]
	v_add_co_u32_e32 v6, vcc, s0, v14
	v_addc_co_u32_e32 v7, vcc, v1, v15, vcc
	global_load_ushort v39, v[6:7], off
	v_add_u32_e32 v6, 0x2cc4c, v2
	v_ashrrev_i32_e32 v7, 31, v6
	v_lshlrev_b64 v[12:13], 1, v[6:7]
	v_add_u32_e32 v6, 0x2ee68, v2
	v_add_co_u32_e32 v28, vcc, s0, v12
	v_ashrrev_i32_e32 v7, 31, v6
	v_addc_co_u32_e32 v29, vcc, v1, v13, vcc
	v_lshlrev_b64 v[6:7], 1, v[6:7]
	v_add_co_u32_e32 v30, vcc, s0, v6
	v_addc_co_u32_e32 v31, vcc, v1, v7, vcc
	global_load_ushort v40, v[28:29], off
	global_load_ushort v41, v[30:31], off
	v_cvt_f32_f16_e32 v37, v34
	s_waitcnt vmcnt(8)
	v_cvt_f32_f16_e32 v27, v27
	global_store_short v[22:23], v36, off
	v_fma_mix_f32 v22, -v25, v34, v24 op_sel_hi:[1,1,1]
	v_mul_f32_e64 v23, v26, -v37
	v_mul_f32_e32 v27, 0x3fb8aa3b, v27
	v_exp_f32_e32 v27, v27
	v_cmp_eq_u32_e32 vcc, 14, v0
	v_cndmask_b32_e32 v22, v23, v22, vcc
	v_cvt_f16_f32_e32 v22, v22
	v_cvt_f16_f32_e32 v23, v27
	v_add_co_u32_e32 v4, vcc, s14, v4
	s_waitcnt vmcnt(8)
	v_cvt_f32_f16_e32 v28, v32
	v_addc_co_u32_e32 v5, vcc, v3, v5, vcc
	global_store_short v[4:5], v22, off
	v_mul_f32_e32 v22, 0x3fb8aa3b, v28
	v_exp_f32_e32 v22, v22
	v_cvt_f32_f16_e32 v27, v23
	v_fma_mix_f32 v4, -v25, v23, v24 op_sel_hi:[1,1,1]
	v_cmp_eq_u32_e32 vcc, 15, v0
	v_cvt_f16_f32_e32 v22, v22
	v_mul_f32_e64 v5, v26, -v27
	v_cndmask_b32_e32 v4, v5, v4, vcc
	v_cvt_f16_f32_e32 v23, v4
	v_add_co_u32_e32 v4, vcc, s14, v8
	v_addc_co_u32_e32 v5, vcc, v3, v9, vcc
	v_cvt_f32_f16_e32 v8, v22
	global_store_short v[4:5], v23, off
	s_waitcnt vmcnt(8)
	v_cvt_f32_f16_e32 v9, v33
	v_fma_mix_f32 v4, -v25, v22, v24 op_sel_hi:[1,1,1]
	v_mul_f32_e64 v5, v26, -v8
	v_cmp_eq_u32_e32 vcc, 16, v0
	v_mul_f32_e32 v8, 0x3fb8aa3b, v9
	v_exp_f32_e32 v8, v8
	v_cndmask_b32_e32 v4, v5, v4, vcc
	v_cvt_f16_f32_e32 v9, v4
	v_add_co_u32_e32 v4, vcc, s14, v10
	v_cvt_f16_f32_e32 v8, v8
	v_addc_co_u32_e32 v5, vcc, v3, v11, vcc
	global_store_short v[4:5], v9, off
	v_cvt_f32_f16_e32 v10, v8
	s_waitcnt vmcnt(8)
	v_cvt_f32_f16_e32 v11, v35
	v_fma_mix_f32 v4, -v25, v8, v24 op_sel_hi:[1,1,1]
	v_cmp_eq_u32_e32 vcc, 17, v0
	v_mul_f32_e64 v5, v26, -v10
	v_mul_f32_e32 v8, 0x3fb8aa3b, v11
	v_exp_f32_e32 v8, v8
	v_cndmask_b32_e32 v4, v5, v4, vcc
	v_cvt_f16_f32_e32 v9, v4
	s_waitcnt vmcnt(7)
	v_cvt_f32_f16_e32 v11, v38
	v_cvt_f16_f32_e32 v8, v8
	v_add_co_u32_e32 v4, vcc, s14, v16
	v_addc_co_u32_e32 v5, vcc, v3, v17, vcc
	v_cvt_f32_f16_e32 v10, v8
	global_store_short v[4:5], v9, off
	v_fma_mix_f32 v4, -v25, v8, v24 op_sel_hi:[1,1,1]
	v_mul_f32_e32 v8, 0x3fb8aa3b, v11
	v_exp_f32_e32 v8, v8
	v_mul_f32_e64 v5, v26, -v10
	v_cmp_eq_u32_e32 vcc, 18, v0
	v_cndmask_b32_e32 v4, v5, v4, vcc
	v_cvt_f16_f32_e32 v9, v4
	v_cvt_f16_f32_e32 v8, v8
	v_add_co_u32_e32 v4, vcc, s14, v18
	s_waitcnt vmcnt(7)
	v_cvt_f32_f16_e32 v10, v39
	v_addc_co_u32_e32 v5, vcc, v3, v19, vcc
	global_store_short v[4:5], v9, off
	v_cvt_f32_f16_e32 v4, v8
	v_fma_mix_f32 v5, -v25, v8, v24 op_sel_hi:[1,1,1]
	v_mul_f32_e32 v8, 0x3fb8aa3b, v10
	v_exp_f32_e32 v8, v8
	v_mul_f32_e64 v4, v26, -v4
	v_cmp_eq_u32_e32 vcc, 19, v0
	v_cndmask_b32_e32 v9, v4, v5, vcc
	v_cvt_f16_f32_e32 v9, v9
	v_cvt_f16_f32_e32 v8, v8
	v_add_co_u32_e32 v4, vcc, s14, v20
	v_addc_co_u32_e32 v5, vcc, v3, v21, vcc
	s_waitcnt vmcnt(7)
	v_cvt_f32_f16_e32 v10, v40
	global_store_short v[4:5], v9, off
	v_add_u32_e32 v4, 0x31084, v2
	v_cvt_f32_f16_e32 v11, v8
	v_ashrrev_i32_e32 v5, 31, v4
	v_fma_mix_f32 v16, -v25, v8, v24 op_sel_hi:[1,1,1]
	v_lshlrev_b64 v[8:9], 1, v[4:5]
	v_add_co_u32_e32 v4, vcc, s0, v8
	v_mul_f32_e32 v10, 0x3fb8aa3b, v10
	v_addc_co_u32_e32 v5, vcc, v1, v9, vcc
	v_exp_f32_e32 v10, v10
	v_mul_f32_e64 v11, v26, -v11
	global_load_ushort v27, v[4:5], off
	v_cmp_eq_u32_e32 vcc, 20, v0
	v_cndmask_b32_e32 v4, v11, v16, vcc
	v_cvt_f16_f32_e32 v16, v4
	v_add_u32_e32 v4, 0x332a0, v2
	v_ashrrev_i32_e32 v5, 31, v4
	v_cvt_f16_f32_e32 v17, v10
	v_lshlrev_b64 v[10:11], 1, v[4:5]
	v_add_co_u32_e32 v4, vcc, s0, v10
	v_addc_co_u32_e32 v5, vcc, v1, v11, vcc
	global_load_ushort v32, v[4:5], off
	v_cvt_f32_f16_e32 v18, v17
	v_add_co_u32_e32 v4, vcc, s14, v14
	v_addc_co_u32_e32 v5, vcc, v3, v15, vcc
	global_store_short v[4:5], v16, off
	v_fma_mix_f32 v4, -v25, v17, v24 op_sel_hi:[1,1,1]
	v_mul_f32_e64 v5, v26, -v18
	v_cmp_eq_u32_e32 vcc, 21, v0
	v_cndmask_b32_e32 v14, v5, v4, vcc
	v_add_u32_e32 v4, 0x354bc, v2
	s_waitcnt vmcnt(10)
	v_cvt_f32_f16_e32 v15, v41
	v_ashrrev_i32_e32 v5, 31, v4
	v_lshlrev_b64 v[16:17], 1, v[4:5]
	v_add_co_u32_e32 v4, vcc, s0, v16
	v_addc_co_u32_e32 v5, vcc, v1, v17, vcc
	global_load_ushort v33, v[4:5], off
	v_mul_f32_e32 v4, 0x3fb8aa3b, v15
	v_exp_f32_e32 v4, v4
	v_add_co_u32_e32 v22, vcc, s14, v12
	v_addc_co_u32_e32 v23, vcc, v3, v13, vcc
	v_cvt_f16_f32_e32 v34, v4
	v_add_u32_e32 v4, 0x376d8, v2
	v_ashrrev_i32_e32 v5, 31, v4
	v_lshlrev_b64 v[18:19], 1, v[4:5]
	v_add_co_u32_e32 v4, vcc, s0, v18
	v_addc_co_u32_e32 v5, vcc, v1, v19, vcc
	global_load_ushort v35, v[4:5], off
	v_add_u32_e32 v4, 0x398f4, v2
	v_ashrrev_i32_e32 v5, 31, v4
	v_lshlrev_b64 v[20:21], 1, v[4:5]
	v_add_co_u32_e32 v4, vcc, s0, v20
	v_addc_co_u32_e32 v5, vcc, v1, v21, vcc
	global_load_ushort v38, v[4:5], off
	v_add_u32_e32 v4, 0x3bb10, v2
	v_ashrrev_i32_e32 v5, 31, v4
	v_cvt_f16_f32_e32 v36, v14
	v_lshlrev_b64 v[14:15], 1, v[4:5]
	v_add_co_u32_e32 v4, vcc, s0, v14
	v_addc_co_u32_e32 v5, vcc, v1, v15, vcc
	global_load_ushort v39, v[4:5], off
	v_add_u32_e32 v4, 0x3dd2c, v2
	v_ashrrev_i32_e32 v5, 31, v4
	v_lshlrev_b64 v[12:13], 1, v[4:5]
	v_add_u32_e32 v4, 0x3ff48, v2
	v_add_co_u32_e32 v28, vcc, s0, v12
	v_ashrrev_i32_e32 v5, 31, v4
	v_addc_co_u32_e32 v29, vcc, v1, v13, vcc
	v_lshlrev_b64 v[4:5], 1, v[4:5]
	v_add_co_u32_e32 v30, vcc, s0, v4
	v_addc_co_u32_e32 v31, vcc, v1, v5, vcc
	global_load_ushort v40, v[28:29], off
	global_load_ushort v41, v[30:31], off
	v_cvt_f32_f16_e32 v37, v34
	s_waitcnt vmcnt(8)
	v_cvt_f32_f16_e32 v27, v27
	global_store_short v[22:23], v36, off
	v_fma_mix_f32 v22, -v25, v34, v24 op_sel_hi:[1,1,1]
	v_mul_f32_e64 v23, v26, -v37
	v_mul_f32_e32 v27, 0x3fb8aa3b, v27
	v_exp_f32_e32 v27, v27
	v_cmp_eq_u32_e32 vcc, 22, v0
	v_cndmask_b32_e32 v22, v23, v22, vcc
	v_cvt_f16_f32_e32 v22, v22
	v_cvt_f16_f32_e32 v23, v27
	v_add_co_u32_e32 v6, vcc, s14, v6
	s_waitcnt vmcnt(8)
	v_cvt_f32_f16_e32 v28, v32
	v_addc_co_u32_e32 v7, vcc, v3, v7, vcc
	global_store_short v[6:7], v22, off
	v_mul_f32_e32 v22, 0x3fb8aa3b, v28
	v_exp_f32_e32 v22, v22
	v_cvt_f32_f16_e32 v27, v23
	v_fma_mix_f32 v6, -v25, v23, v24 op_sel_hi:[1,1,1]
	v_cmp_eq_u32_e32 vcc, 23, v0
	v_cvt_f16_f32_e32 v22, v22
	v_mul_f32_e64 v7, v26, -v27
	v_cndmask_b32_e32 v6, v7, v6, vcc
	v_cvt_f16_f32_e32 v23, v6
	v_add_co_u32_e32 v6, vcc, s14, v8
	v_addc_co_u32_e32 v7, vcc, v3, v9, vcc
	v_cvt_f32_f16_e32 v8, v22
	global_store_short v[6:7], v23, off
	s_waitcnt vmcnt(8)
	v_cvt_f32_f16_e32 v9, v33
	v_fma_mix_f32 v6, -v25, v22, v24 op_sel_hi:[1,1,1]
	v_mul_f32_e64 v7, v26, -v8
	v_cmp_eq_u32_e32 vcc, 24, v0
	v_mul_f32_e32 v8, 0x3fb8aa3b, v9
	v_exp_f32_e32 v8, v8
	v_cndmask_b32_e32 v6, v7, v6, vcc
	v_cvt_f16_f32_e32 v9, v6
	v_add_co_u32_e32 v6, vcc, s14, v10
	v_cvt_f16_f32_e32 v8, v8
	v_addc_co_u32_e32 v7, vcc, v3, v11, vcc
	global_store_short v[6:7], v9, off
	v_cvt_f32_f16_e32 v10, v8
	s_waitcnt vmcnt(8)
	v_cvt_f32_f16_e32 v11, v35
	v_fma_mix_f32 v6, -v25, v8, v24 op_sel_hi:[1,1,1]
	v_cmp_eq_u32_e32 vcc, 25, v0
	v_mul_f32_e64 v7, v26, -v10
	v_mul_f32_e32 v8, 0x3fb8aa3b, v11
	v_exp_f32_e32 v8, v8
	v_cndmask_b32_e32 v6, v7, v6, vcc
	v_cvt_f16_f32_e32 v9, v6
	s_waitcnt vmcnt(7)
	v_cvt_f32_f16_e32 v11, v38
	v_cvt_f16_f32_e32 v8, v8
	v_add_co_u32_e32 v6, vcc, s14, v16
	v_addc_co_u32_e32 v7, vcc, v3, v17, vcc
	v_cvt_f32_f16_e32 v10, v8
	global_store_short v[6:7], v9, off
	v_fma_mix_f32 v6, -v25, v8, v24 op_sel_hi:[1,1,1]
	v_mul_f32_e32 v8, 0x3fb8aa3b, v11
	v_exp_f32_e32 v8, v8
	v_mul_f32_e64 v7, v26, -v10
	v_cmp_eq_u32_e32 vcc, 26, v0
	v_cndmask_b32_e32 v6, v7, v6, vcc
	v_cvt_f16_f32_e32 v9, v6
	v_cvt_f16_f32_e32 v8, v8
	v_add_co_u32_e32 v6, vcc, s14, v18
	s_waitcnt vmcnt(7)
	v_cvt_f32_f16_e32 v10, v39
	v_addc_co_u32_e32 v7, vcc, v3, v19, vcc
	global_store_short v[6:7], v9, off
	v_cvt_f32_f16_e32 v6, v8
	v_fma_mix_f32 v7, -v25, v8, v24 op_sel_hi:[1,1,1]
	v_mul_f32_e32 v8, 0x3fb8aa3b, v10
	v_exp_f32_e32 v8, v8
	v_mul_f32_e64 v6, v26, -v6
	v_cmp_eq_u32_e32 vcc, 27, v0
	v_cndmask_b32_e32 v9, v6, v7, vcc
	v_cvt_f16_f32_e32 v9, v9
	v_cvt_f16_f32_e32 v8, v8
	v_add_co_u32_e32 v6, vcc, s14, v20
	v_addc_co_u32_e32 v7, vcc, v3, v21, vcc
	s_waitcnt vmcnt(7)
	v_cvt_f32_f16_e32 v10, v40
	global_store_short v[6:7], v9, off
	v_add_u32_e32 v6, 0x42164, v2
	v_cvt_f32_f16_e32 v11, v8
	v_ashrrev_i32_e32 v7, 31, v6
	v_fma_mix_f32 v16, -v25, v8, v24 op_sel_hi:[1,1,1]
	v_lshlrev_b64 v[8:9], 1, v[6:7]
	v_add_co_u32_e32 v6, vcc, s0, v8
	v_mul_f32_e32 v10, 0x3fb8aa3b, v10
	v_addc_co_u32_e32 v7, vcc, v1, v9, vcc
	v_exp_f32_e32 v10, v10
	v_mul_f32_e64 v11, v26, -v11
	global_load_ushort v27, v[6:7], off
	v_cmp_eq_u32_e32 vcc, 28, v0
	v_cndmask_b32_e32 v6, v11, v16, vcc
	v_cvt_f16_f32_e32 v16, v6
	v_add_u32_e32 v6, 0x44380, v2
	v_ashrrev_i32_e32 v7, 31, v6
	v_cvt_f16_f32_e32 v17, v10
	v_lshlrev_b64 v[10:11], 1, v[6:7]
	v_add_co_u32_e32 v6, vcc, s0, v10
	v_addc_co_u32_e32 v7, vcc, v1, v11, vcc
	global_load_ushort v32, v[6:7], off
	v_cvt_f32_f16_e32 v18, v17
	v_add_co_u32_e32 v6, vcc, s14, v14
	v_addc_co_u32_e32 v7, vcc, v3, v15, vcc
	global_store_short v[6:7], v16, off
	v_fma_mix_f32 v6, -v25, v17, v24 op_sel_hi:[1,1,1]
	v_mul_f32_e64 v7, v26, -v18
	v_cmp_eq_u32_e32 vcc, 29, v0
	v_cndmask_b32_e32 v14, v7, v6, vcc
	v_add_u32_e32 v6, 0x4659c, v2
	s_waitcnt vmcnt(10)
	v_cvt_f32_f16_e32 v15, v41
	v_ashrrev_i32_e32 v7, 31, v6
	v_lshlrev_b64 v[16:17], 1, v[6:7]
	v_add_co_u32_e32 v6, vcc, s0, v16
	v_addc_co_u32_e32 v7, vcc, v1, v17, vcc
	global_load_ushort v33, v[6:7], off
	v_mul_f32_e32 v6, 0x3fb8aa3b, v15
	v_exp_f32_e32 v6, v6
	v_add_co_u32_e32 v22, vcc, s14, v12
	v_addc_co_u32_e32 v23, vcc, v3, v13, vcc
	v_cvt_f16_f32_e32 v34, v6
	v_add_u32_e32 v6, 0x487b8, v2
	v_ashrrev_i32_e32 v7, 31, v6
	v_lshlrev_b64 v[18:19], 1, v[6:7]
	v_add_co_u32_e32 v6, vcc, s0, v18
	v_addc_co_u32_e32 v7, vcc, v1, v19, vcc
	global_load_ushort v35, v[6:7], off
	v_add_u32_e32 v6, 0x4a9d4, v2
	v_ashrrev_i32_e32 v7, 31, v6
	v_lshlrev_b64 v[20:21], 1, v[6:7]
	v_add_co_u32_e32 v6, vcc, s0, v20
	v_addc_co_u32_e32 v7, vcc, v1, v21, vcc
	global_load_ushort v38, v[6:7], off
	v_add_u32_e32 v6, 0x4cbf0, v2
	v_ashrrev_i32_e32 v7, 31, v6
	v_cvt_f16_f32_e32 v36, v14
	v_lshlrev_b64 v[14:15], 1, v[6:7]
	v_add_co_u32_e32 v6, vcc, s0, v14
	v_addc_co_u32_e32 v7, vcc, v1, v15, vcc
	global_load_ushort v39, v[6:7], off
	v_add_u32_e32 v6, 0x4ee0c, v2
	v_ashrrev_i32_e32 v7, 31, v6
	v_lshlrev_b64 v[12:13], 1, v[6:7]
	v_add_u32_e32 v6, 0x51028, v2
	v_add_co_u32_e32 v28, vcc, s0, v12
	v_ashrrev_i32_e32 v7, 31, v6
	v_addc_co_u32_e32 v29, vcc, v1, v13, vcc
	v_lshlrev_b64 v[6:7], 1, v[6:7]
	v_add_co_u32_e32 v30, vcc, s0, v6
	v_addc_co_u32_e32 v31, vcc, v1, v7, vcc
	global_load_ushort v40, v[28:29], off
	global_load_ushort v41, v[30:31], off
	v_cvt_f32_f16_e32 v37, v34
	s_waitcnt vmcnt(8)
	v_cvt_f32_f16_e32 v27, v27
	global_store_short v[22:23], v36, off
	v_fma_mix_f32 v22, -v25, v34, v24 op_sel_hi:[1,1,1]
	v_mul_f32_e64 v23, v26, -v37
	v_mul_f32_e32 v27, 0x3fb8aa3b, v27
	v_exp_f32_e32 v27, v27
	v_cmp_eq_u32_e32 vcc, 30, v0
	v_cndmask_b32_e32 v22, v23, v22, vcc
	v_cvt_f16_f32_e32 v22, v22
	v_cvt_f16_f32_e32 v23, v27
	v_add_co_u32_e32 v4, vcc, s14, v4
	s_waitcnt vmcnt(8)
	v_cvt_f32_f16_e32 v28, v32
	v_addc_co_u32_e32 v5, vcc, v3, v5, vcc
	global_store_short v[4:5], v22, off
	v_mul_f32_e32 v22, 0x3fb8aa3b, v28
	v_exp_f32_e32 v22, v22
	v_cvt_f32_f16_e32 v27, v23
	v_fma_mix_f32 v4, -v25, v23, v24 op_sel_hi:[1,1,1]
	v_cmp_eq_u32_e32 vcc, 31, v0
	v_cvt_f16_f32_e32 v22, v22
	v_mul_f32_e64 v5, v26, -v27
	v_cndmask_b32_e32 v4, v5, v4, vcc
	v_cvt_f16_f32_e32 v23, v4
	v_add_co_u32_e32 v4, vcc, s14, v8
	v_addc_co_u32_e32 v5, vcc, v3, v9, vcc
	v_cvt_f32_f16_e32 v8, v22
	global_store_short v[4:5], v23, off
	s_waitcnt vmcnt(8)
	v_cvt_f32_f16_e32 v9, v33
	v_fma_mix_f32 v4, -v25, v22, v24 op_sel_hi:[1,1,1]
	v_mul_f32_e64 v5, v26, -v8
	v_cmp_eq_u32_e32 vcc, 32, v0
	v_mul_f32_e32 v8, 0x3fb8aa3b, v9
	v_exp_f32_e32 v8, v8
	v_cndmask_b32_e32 v4, v5, v4, vcc
	v_cvt_f16_f32_e32 v9, v4
	v_add_co_u32_e32 v4, vcc, s14, v10
	v_cvt_f16_f32_e32 v8, v8
	v_addc_co_u32_e32 v5, vcc, v3, v11, vcc
	global_store_short v[4:5], v9, off
	v_cvt_f32_f16_e32 v10, v8
	s_waitcnt vmcnt(8)
	v_cvt_f32_f16_e32 v11, v35
	v_fma_mix_f32 v4, -v25, v8, v24 op_sel_hi:[1,1,1]
	v_cmp_eq_u32_e32 vcc, 33, v0
	v_mul_f32_e64 v5, v26, -v10
	v_mul_f32_e32 v8, 0x3fb8aa3b, v11
	v_exp_f32_e32 v8, v8
	v_cndmask_b32_e32 v4, v5, v4, vcc
	v_cvt_f16_f32_e32 v9, v4
	s_waitcnt vmcnt(7)
	v_cvt_f32_f16_e32 v11, v38
	v_cvt_f16_f32_e32 v8, v8
	v_add_co_u32_e32 v4, vcc, s14, v16
	v_addc_co_u32_e32 v5, vcc, v3, v17, vcc
	v_cvt_f32_f16_e32 v10, v8
	global_store_short v[4:5], v9, off
	v_fma_mix_f32 v4, -v25, v8, v24 op_sel_hi:[1,1,1]
	v_mul_f32_e32 v8, 0x3fb8aa3b, v11
	v_exp_f32_e32 v8, v8
	v_mul_f32_e64 v5, v26, -v10
	v_cmp_eq_u32_e32 vcc, 34, v0
	v_cndmask_b32_e32 v4, v5, v4, vcc
	v_cvt_f16_f32_e32 v9, v4
	v_cvt_f16_f32_e32 v8, v8
	v_add_co_u32_e32 v4, vcc, s14, v18
	s_waitcnt vmcnt(7)
	v_cvt_f32_f16_e32 v10, v39
	v_addc_co_u32_e32 v5, vcc, v3, v19, vcc
	global_store_short v[4:5], v9, off
	v_cvt_f32_f16_e32 v4, v8
	v_fma_mix_f32 v5, -v25, v8, v24 op_sel_hi:[1,1,1]
	v_mul_f32_e32 v8, 0x3fb8aa3b, v10
	v_exp_f32_e32 v8, v8
	v_mul_f32_e64 v4, v26, -v4
	v_cmp_eq_u32_e32 vcc, 35, v0
	v_cndmask_b32_e32 v9, v4, v5, vcc
	v_cvt_f16_f32_e32 v9, v9
	v_cvt_f16_f32_e32 v8, v8
	v_add_co_u32_e32 v4, vcc, s14, v20
	v_addc_co_u32_e32 v5, vcc, v3, v21, vcc
	s_waitcnt vmcnt(7)
	v_cvt_f32_f16_e32 v10, v40
	global_store_short v[4:5], v9, off
	v_add_u32_e32 v4, 0x53244, v2
	v_cvt_f32_f16_e32 v11, v8
	v_ashrrev_i32_e32 v5, 31, v4
	v_fma_mix_f32 v16, -v25, v8, v24 op_sel_hi:[1,1,1]
	v_lshlrev_b64 v[8:9], 1, v[4:5]
	v_add_co_u32_e32 v4, vcc, s0, v8
	v_mul_f32_e32 v10, 0x3fb8aa3b, v10
	v_addc_co_u32_e32 v5, vcc, v1, v9, vcc
	v_exp_f32_e32 v10, v10
	v_mul_f32_e64 v11, v26, -v11
	global_load_ushort v27, v[4:5], off
	v_cmp_eq_u32_e32 vcc, 36, v0
	v_cndmask_b32_e32 v4, v11, v16, vcc
	v_cvt_f16_f32_e32 v16, v4
	v_add_u32_e32 v4, 0x55460, v2
	v_ashrrev_i32_e32 v5, 31, v4
	v_cvt_f16_f32_e32 v17, v10
	v_lshlrev_b64 v[10:11], 1, v[4:5]
	v_add_co_u32_e32 v4, vcc, s0, v10
	v_addc_co_u32_e32 v5, vcc, v1, v11, vcc
	global_load_ushort v32, v[4:5], off
	v_cvt_f32_f16_e32 v18, v17
	v_add_co_u32_e32 v4, vcc, s14, v14
	v_addc_co_u32_e32 v5, vcc, v3, v15, vcc
	global_store_short v[4:5], v16, off
	v_fma_mix_f32 v4, -v25, v17, v24 op_sel_hi:[1,1,1]
	v_mul_f32_e64 v5, v26, -v18
	v_cmp_eq_u32_e32 vcc, 37, v0
	v_cndmask_b32_e32 v14, v5, v4, vcc
	v_add_u32_e32 v4, 0x5767c, v2
	s_waitcnt vmcnt(10)
	v_cvt_f32_f16_e32 v15, v41
	v_ashrrev_i32_e32 v5, 31, v4
	v_lshlrev_b64 v[16:17], 1, v[4:5]
	v_add_co_u32_e32 v4, vcc, s0, v16
	v_addc_co_u32_e32 v5, vcc, v1, v17, vcc
	global_load_ushort v33, v[4:5], off
	v_mul_f32_e32 v4, 0x3fb8aa3b, v15
	v_exp_f32_e32 v4, v4
	v_add_co_u32_e32 v22, vcc, s14, v12
	v_addc_co_u32_e32 v23, vcc, v3, v13, vcc
	v_cvt_f16_f32_e32 v34, v4
	v_add_u32_e32 v4, 0x59898, v2
	v_ashrrev_i32_e32 v5, 31, v4
	v_lshlrev_b64 v[18:19], 1, v[4:5]
	v_add_co_u32_e32 v4, vcc, s0, v18
	v_addc_co_u32_e32 v5, vcc, v1, v19, vcc
	global_load_ushort v35, v[4:5], off
	v_add_u32_e32 v4, 0x5bab4, v2
	v_ashrrev_i32_e32 v5, 31, v4
	v_lshlrev_b64 v[20:21], 1, v[4:5]
	v_add_co_u32_e32 v4, vcc, s0, v20
	v_addc_co_u32_e32 v5, vcc, v1, v21, vcc
	global_load_ushort v38, v[4:5], off
	v_add_u32_e32 v4, 0x5dcd0, v2
	v_ashrrev_i32_e32 v5, 31, v4
	v_cvt_f16_f32_e32 v36, v14
	v_lshlrev_b64 v[14:15], 1, v[4:5]
	v_add_co_u32_e32 v4, vcc, s0, v14
	v_addc_co_u32_e32 v5, vcc, v1, v15, vcc
	global_load_ushort v39, v[4:5], off
	v_add_u32_e32 v4, 0x5feec, v2
	v_ashrrev_i32_e32 v5, 31, v4
	v_lshlrev_b64 v[12:13], 1, v[4:5]
	v_add_u32_e32 v4, 0x62108, v2
	v_add_co_u32_e32 v28, vcc, s0, v12
	v_ashrrev_i32_e32 v5, 31, v4
	v_addc_co_u32_e32 v29, vcc, v1, v13, vcc
	v_lshlrev_b64 v[4:5], 1, v[4:5]
	v_add_co_u32_e32 v30, vcc, s0, v4
	v_addc_co_u32_e32 v31, vcc, v1, v5, vcc
	global_load_ushort v40, v[28:29], off
	global_load_ushort v41, v[30:31], off
	v_cvt_f32_f16_e32 v37, v34
	s_waitcnt vmcnt(8)
	v_cvt_f32_f16_e32 v27, v27
	global_store_short v[22:23], v36, off
	v_fma_mix_f32 v22, -v25, v34, v24 op_sel_hi:[1,1,1]
	v_mul_f32_e64 v23, v26, -v37
	v_mul_f32_e32 v27, 0x3fb8aa3b, v27
	v_exp_f32_e32 v27, v27
	v_cmp_eq_u32_e32 vcc, 38, v0
	v_cndmask_b32_e32 v22, v23, v22, vcc
	v_cvt_f16_f32_e32 v22, v22
	v_cvt_f16_f32_e32 v23, v27
	v_add_co_u32_e32 v6, vcc, s14, v6
	s_waitcnt vmcnt(8)
	v_cvt_f32_f16_e32 v28, v32
	v_addc_co_u32_e32 v7, vcc, v3, v7, vcc
	global_store_short v[6:7], v22, off
	v_mul_f32_e32 v22, 0x3fb8aa3b, v28
	v_exp_f32_e32 v22, v22
	v_cvt_f32_f16_e32 v27, v23
	v_fma_mix_f32 v6, -v25, v23, v24 op_sel_hi:[1,1,1]
	v_cmp_eq_u32_e32 vcc, 39, v0
	v_cvt_f16_f32_e32 v22, v22
	v_mul_f32_e64 v7, v26, -v27
	v_cndmask_b32_e32 v6, v7, v6, vcc
	v_cvt_f16_f32_e32 v23, v6
	v_add_co_u32_e32 v6, vcc, s14, v8
	v_addc_co_u32_e32 v7, vcc, v3, v9, vcc
	v_cvt_f32_f16_e32 v8, v22
	global_store_short v[6:7], v23, off
	s_waitcnt vmcnt(8)
	v_cvt_f32_f16_e32 v9, v33
	v_fma_mix_f32 v6, -v25, v22, v24 op_sel_hi:[1,1,1]
	v_mul_f32_e64 v7, v26, -v8
	v_cmp_eq_u32_e32 vcc, 40, v0
	v_mul_f32_e32 v8, 0x3fb8aa3b, v9
	v_exp_f32_e32 v8, v8
	v_cndmask_b32_e32 v6, v7, v6, vcc
	v_cvt_f16_f32_e32 v9, v6
	v_add_co_u32_e32 v6, vcc, s14, v10
	v_cvt_f16_f32_e32 v8, v8
	v_addc_co_u32_e32 v7, vcc, v3, v11, vcc
	global_store_short v[6:7], v9, off
	v_cvt_f32_f16_e32 v10, v8
	s_waitcnt vmcnt(8)
	v_cvt_f32_f16_e32 v11, v35
	v_fma_mix_f32 v6, -v25, v8, v24 op_sel_hi:[1,1,1]
	v_cmp_eq_u32_e32 vcc, 41, v0
	v_mul_f32_e64 v7, v26, -v10
	v_mul_f32_e32 v8, 0x3fb8aa3b, v11
	v_exp_f32_e32 v8, v8
	v_cndmask_b32_e32 v6, v7, v6, vcc
	v_cvt_f16_f32_e32 v9, v6
	s_waitcnt vmcnt(7)
	v_cvt_f32_f16_e32 v11, v38
	v_cvt_f16_f32_e32 v8, v8
	v_add_co_u32_e32 v6, vcc, s14, v16
	v_addc_co_u32_e32 v7, vcc, v3, v17, vcc
	v_cvt_f32_f16_e32 v10, v8
	global_store_short v[6:7], v9, off
	v_fma_mix_f32 v6, -v25, v8, v24 op_sel_hi:[1,1,1]
	v_mul_f32_e32 v8, 0x3fb8aa3b, v11
	v_exp_f32_e32 v8, v8
	v_mul_f32_e64 v7, v26, -v10
	v_cmp_eq_u32_e32 vcc, 42, v0
	v_cndmask_b32_e32 v6, v7, v6, vcc
	v_cvt_f16_f32_e32 v9, v6
	v_cvt_f16_f32_e32 v8, v8
	v_add_co_u32_e32 v6, vcc, s14, v18
	s_waitcnt vmcnt(7)
	v_cvt_f32_f16_e32 v10, v39
	v_addc_co_u32_e32 v7, vcc, v3, v19, vcc
	global_store_short v[6:7], v9, off
	v_cvt_f32_f16_e32 v6, v8
	v_fma_mix_f32 v7, -v25, v8, v24 op_sel_hi:[1,1,1]
	v_mul_f32_e32 v8, 0x3fb8aa3b, v10
	v_exp_f32_e32 v8, v8
	v_mul_f32_e64 v6, v26, -v6
	v_cmp_eq_u32_e32 vcc, 43, v0
	v_cndmask_b32_e32 v9, v6, v7, vcc
	v_cvt_f16_f32_e32 v9, v9
	v_cvt_f16_f32_e32 v8, v8
	v_add_co_u32_e32 v6, vcc, s14, v20
	v_addc_co_u32_e32 v7, vcc, v3, v21, vcc
	s_waitcnt vmcnt(7)
	v_cvt_f32_f16_e32 v10, v40
	global_store_short v[6:7], v9, off
	v_add_u32_e32 v6, 0x64324, v2
	v_cvt_f32_f16_e32 v11, v8
	v_ashrrev_i32_e32 v7, 31, v6
	v_lshlrev_b64 v[6:7], 1, v[6:7]
	v_fma_mix_f32 v16, -v25, v8, v24 op_sel_hi:[1,1,1]
	v_add_co_u32_e32 v8, vcc, s0, v6
	v_mul_f32_e32 v10, 0x3fb8aa3b, v10
	v_addc_co_u32_e32 v9, vcc, v1, v7, vcc
	v_exp_f32_e32 v10, v10
	v_mul_f32_e64 v11, v26, -v11
	global_load_ushort v27, v[8:9], off
	v_cmp_eq_u32_e32 vcc, 44, v0
	v_cndmask_b32_e32 v8, v11, v16, vcc
	v_cvt_f16_f32_e32 v16, v8
	v_add_u32_e32 v8, 0x66540, v2
	v_ashrrev_i32_e32 v9, 31, v8
	v_cvt_f16_f32_e32 v17, v10
	v_lshlrev_b64 v[10:11], 1, v[8:9]
	v_add_co_u32_e32 v8, vcc, s0, v10
	v_addc_co_u32_e32 v9, vcc, v1, v11, vcc
	global_load_ushort v32, v[8:9], off
	v_cvt_f32_f16_e32 v18, v17
	v_add_co_u32_e32 v8, vcc, s14, v14
	v_addc_co_u32_e32 v9, vcc, v3, v15, vcc
	global_store_short v[8:9], v16, off
	v_fma_mix_f32 v8, -v25, v17, v24 op_sel_hi:[1,1,1]
	v_mul_f32_e64 v9, v26, -v18
	v_cmp_eq_u32_e32 vcc, 45, v0
	v_cndmask_b32_e32 v14, v9, v8, vcc
	v_add_u32_e32 v8, 0x6875c, v2
	s_waitcnt vmcnt(10)
	v_cvt_f32_f16_e32 v15, v41
	v_ashrrev_i32_e32 v9, 31, v8
	v_lshlrev_b64 v[16:17], 1, v[8:9]
	v_add_co_u32_e32 v8, vcc, s0, v16
	v_addc_co_u32_e32 v9, vcc, v1, v17, vcc
	global_load_ushort v33, v[8:9], off
	v_mul_f32_e32 v8, 0x3fb8aa3b, v15
	v_exp_f32_e32 v8, v8
	v_add_co_u32_e32 v22, vcc, s14, v12
	v_addc_co_u32_e32 v23, vcc, v3, v13, vcc
	v_cvt_f16_f32_e32 v34, v8
	v_add_u32_e32 v8, 0x6a978, v2
	v_ashrrev_i32_e32 v9, 31, v8
	v_lshlrev_b64 v[18:19], 1, v[8:9]
	v_add_co_u32_e32 v8, vcc, s0, v18
	v_addc_co_u32_e32 v9, vcc, v1, v19, vcc
	global_load_ushort v35, v[8:9], off
	v_add_u32_e32 v8, 0x6cb94, v2
	v_ashrrev_i32_e32 v9, 31, v8
	v_lshlrev_b64 v[20:21], 1, v[8:9]
	v_add_co_u32_e32 v8, vcc, s0, v20
	v_addc_co_u32_e32 v9, vcc, v1, v21, vcc
	global_load_ushort v38, v[8:9], off
	v_add_u32_e32 v8, 0x6edb0, v2
	v_ashrrev_i32_e32 v9, 31, v8
	v_cvt_f16_f32_e32 v36, v14
	v_lshlrev_b64 v[14:15], 1, v[8:9]
	v_add_co_u32_e32 v8, vcc, s0, v14
	v_addc_co_u32_e32 v9, vcc, v1, v15, vcc
	global_load_ushort v39, v[8:9], off
	v_add_u32_e32 v8, 0x70fcc, v2
	v_ashrrev_i32_e32 v9, 31, v8
	v_lshlrev_b64 v[12:13], 1, v[8:9]
	v_add_u32_e32 v8, 0x731e8, v2
	v_add_co_u32_e32 v28, vcc, s0, v12
	v_ashrrev_i32_e32 v9, 31, v8
	v_addc_co_u32_e32 v29, vcc, v1, v13, vcc
	v_lshlrev_b64 v[8:9], 1, v[8:9]
	v_add_co_u32_e32 v30, vcc, s0, v8
	v_addc_co_u32_e32 v31, vcc, v1, v9, vcc
	global_load_ushort v40, v[28:29], off
	global_load_ushort v41, v[30:31], off
	v_cvt_f32_f16_e32 v37, v34
	s_waitcnt vmcnt(8)
	v_cvt_f32_f16_e32 v27, v27
	global_store_short v[22:23], v36, off
	v_fma_mix_f32 v22, -v25, v34, v24 op_sel_hi:[1,1,1]
	v_mul_f32_e64 v23, v26, -v37
	v_mul_f32_e32 v27, 0x3fb8aa3b, v27
	v_exp_f32_e32 v27, v27
	v_cmp_eq_u32_e32 vcc, 46, v0
	v_cndmask_b32_e32 v22, v23, v22, vcc
	v_cvt_f16_f32_e32 v22, v22
	v_cvt_f16_f32_e32 v23, v27
	v_add_co_u32_e32 v4, vcc, s14, v4
	s_waitcnt vmcnt(8)
	v_cvt_f32_f16_e32 v28, v32
	v_addc_co_u32_e32 v5, vcc, v3, v5, vcc
	global_store_short v[4:5], v22, off
	v_mul_f32_e32 v22, 0x3fb8aa3b, v28
	v_exp_f32_e32 v22, v22
	v_cvt_f32_f16_e32 v27, v23
	v_fma_mix_f32 v4, -v25, v23, v24 op_sel_hi:[1,1,1]
	v_cmp_eq_u32_e32 vcc, 47, v0
	v_cvt_f16_f32_e32 v22, v22
	v_mul_f32_e64 v5, v26, -v27
	v_cndmask_b32_e32 v4, v5, v4, vcc
	v_cvt_f16_f32_e32 v23, v4
	v_add_co_u32_e32 v4, vcc, s14, v6
	v_addc_co_u32_e32 v5, vcc, v3, v7, vcc
	v_cvt_f32_f16_e32 v6, v22
	global_store_short v[4:5], v23, off
	s_waitcnt vmcnt(8)
	v_cvt_f32_f16_e32 v7, v33
	v_fma_mix_f32 v4, -v25, v22, v24 op_sel_hi:[1,1,1]
	v_mul_f32_e64 v5, v26, -v6
	v_cmp_eq_u32_e32 vcc, 48, v0
	v_mul_f32_e32 v6, 0x3fb8aa3b, v7
	v_exp_f32_e32 v6, v6
	v_cndmask_b32_e32 v4, v5, v4, vcc
	v_cvt_f16_f32_e32 v7, v4
	v_add_co_u32_e32 v4, vcc, s14, v10
	v_cvt_f16_f32_e32 v6, v6
	v_addc_co_u32_e32 v5, vcc, v3, v11, vcc
	global_store_short v[4:5], v7, off
	v_cvt_f32_f16_e32 v10, v6
	s_waitcnt vmcnt(8)
	v_cvt_f32_f16_e32 v11, v35
	v_fma_mix_f32 v4, -v25, v6, v24 op_sel_hi:[1,1,1]
	v_cmp_eq_u32_e32 vcc, 49, v0
	v_mul_f32_e64 v5, v26, -v10
	v_mul_f32_e32 v6, 0x3fb8aa3b, v11
	v_exp_f32_e32 v6, v6
	v_cndmask_b32_e32 v4, v5, v4, vcc
	v_cvt_f16_f32_e32 v7, v4
	s_waitcnt vmcnt(7)
	v_cvt_f32_f16_e32 v11, v38
	v_cvt_f16_f32_e32 v6, v6
	v_add_co_u32_e32 v4, vcc, s14, v16
	v_addc_co_u32_e32 v5, vcc, v3, v17, vcc
	v_cvt_f32_f16_e32 v10, v6
	global_store_short v[4:5], v7, off
	v_fma_mix_f32 v4, -v25, v6, v24 op_sel_hi:[1,1,1]
	v_mul_f32_e32 v6, 0x3fb8aa3b, v11
	v_exp_f32_e32 v6, v6
	v_mul_f32_e64 v5, v26, -v10
	v_cmp_eq_u32_e32 vcc, 50, v0
	v_cndmask_b32_e32 v4, v5, v4, vcc
	v_cvt_f16_f32_e32 v7, v4
	v_cvt_f16_f32_e32 v6, v6
	v_add_co_u32_e32 v4, vcc, s14, v18
	v_addc_co_u32_e32 v5, vcc, v3, v19, vcc
	s_waitcnt vmcnt(7)
	v_cvt_f32_f16_e32 v10, v39
	global_store_short v[4:5], v7, off
	v_cvt_f32_f16_e32 v4, v6
	v_fma_mix_f32 v5, -v25, v6, v24 op_sel_hi:[1,1,1]
	v_mul_f32_e32 v6, 0x3fb8aa3b, v10
	v_cmp_eq_u32_e32 vcc, 51, v0
	v_mul_f32_e64 v4, v26, -v4
	v_exp_f32_e32 v6, v6
	v_cndmask_b32_e32 v7, v4, v5, vcc
	v_cvt_f16_f32_e32 v7, v7
	v_add_co_u32_e32 v4, vcc, s14, v20
	v_cvt_f16_f32_e32 v6, v6
	v_addc_co_u32_e32 v5, vcc, v3, v21, vcc
	global_store_short v[4:5], v7, off
	v_add_u32_e32 v4, 0x75404, v2
	s_waitcnt vmcnt(8)
	v_cvt_f32_f16_e32 v10, v40
	v_ashrrev_i32_e32 v5, 31, v4
	v_lshlrev_b64 v[4:5], 1, v[4:5]
	v_cvt_f32_f16_e32 v11, v6
	v_fma_mix_f32 v16, -v25, v6, v24 op_sel_hi:[1,1,1]
	v_add_co_u32_e32 v6, vcc, s0, v4
	v_addc_co_u32_e32 v7, vcc, v1, v5, vcc
	v_mul_f32_e32 v10, 0x3fb8aa3b, v10
	global_load_ushort v27, v[6:7], off
	v_exp_f32_e32 v10, v10
	v_mul_f32_e64 v11, v26, -v11
	v_cmp_eq_u32_e32 vcc, 52, v0
	v_cndmask_b32_e32 v6, v11, v16, vcc
	v_cvt_f16_f32_e32 v16, v6
	v_add_u32_e32 v6, 0x77620, v2
	v_cvt_f16_f32_e32 v17, v10
	v_ashrrev_i32_e32 v7, 31, v6
	v_lshlrev_b64 v[10:11], 1, v[6:7]
	v_add_co_u32_e32 v6, vcc, s0, v10
	v_addc_co_u32_e32 v7, vcc, v1, v11, vcc
	v_cvt_f32_f16_e32 v18, v17
	global_load_ushort v32, v[6:7], off
	v_add_co_u32_e32 v6, vcc, s14, v14
	v_addc_co_u32_e32 v7, vcc, v3, v15, vcc
	global_store_short v[6:7], v16, off
	v_fma_mix_f32 v6, -v25, v17, v24 op_sel_hi:[1,1,1]
	v_mul_f32_e64 v7, v26, -v18
	v_cmp_eq_u32_e32 vcc, 53, v0
	v_cndmask_b32_e32 v14, v7, v6, vcc
	v_add_u32_e32 v6, 0x7983c, v2
	s_waitcnt vmcnt(10)
	v_cvt_f32_f16_e32 v15, v41
	v_ashrrev_i32_e32 v7, 31, v6
	v_lshlrev_b64 v[16:17], 1, v[6:7]
	v_add_co_u32_e32 v6, vcc, s0, v16
	v_addc_co_u32_e32 v7, vcc, v1, v17, vcc
	global_load_ushort v33, v[6:7], off
	v_mul_f32_e32 v6, 0x3fb8aa3b, v15
	v_exp_f32_e32 v6, v6
	v_add_co_u32_e32 v22, vcc, s14, v12
	v_addc_co_u32_e32 v23, vcc, v3, v13, vcc
	v_cvt_f16_f32_e32 v34, v6
	v_add_u32_e32 v6, 0x7ba58, v2
	v_ashrrev_i32_e32 v7, 31, v6
	v_lshlrev_b64 v[18:19], 1, v[6:7]
	v_add_co_u32_e32 v6, vcc, s0, v18
	v_addc_co_u32_e32 v7, vcc, v1, v19, vcc
	global_load_ushort v35, v[6:7], off
	v_add_u32_e32 v6, 0x7dc74, v2
	v_ashrrev_i32_e32 v7, 31, v6
	v_lshlrev_b64 v[20:21], 1, v[6:7]
	v_add_co_u32_e32 v6, vcc, s0, v20
	v_addc_co_u32_e32 v7, vcc, v1, v21, vcc
	global_load_ushort v38, v[6:7], off
	v_add_u32_e32 v6, 0x7fe90, v2
	v_ashrrev_i32_e32 v7, 31, v6
	v_cvt_f16_f32_e32 v36, v14
	v_lshlrev_b64 v[14:15], 1, v[6:7]
	v_add_co_u32_e32 v6, vcc, s0, v14
	v_addc_co_u32_e32 v7, vcc, v1, v15, vcc
	global_load_ushort v39, v[6:7], off
	v_add_u32_e32 v6, 0x820ac, v2
	v_ashrrev_i32_e32 v7, 31, v6
	v_lshlrev_b64 v[12:13], 1, v[6:7]
	v_add_u32_e32 v6, 0x842c8, v2
	v_add_co_u32_e32 v28, vcc, s0, v12
	v_ashrrev_i32_e32 v7, 31, v6
	v_addc_co_u32_e32 v29, vcc, v1, v13, vcc
	v_lshlrev_b64 v[6:7], 1, v[6:7]
	v_add_co_u32_e32 v30, vcc, s0, v6
	v_addc_co_u32_e32 v31, vcc, v1, v7, vcc
	global_load_ushort v40, v[28:29], off
	global_load_ushort v41, v[30:31], off
	s_waitcnt vmcnt(8)
	v_cvt_f32_f16_e32 v27, v27
	v_cvt_f32_f16_e32 v37, v34
	global_store_short v[22:23], v36, off
	v_fma_mix_f32 v22, -v25, v34, v24 op_sel_hi:[1,1,1]
	v_mul_f32_e32 v27, 0x3fb8aa3b, v27
	v_exp_f32_e32 v27, v27
	v_mul_f32_e64 v23, v26, -v37
	v_cmp_eq_u32_e32 vcc, 54, v0
	v_cndmask_b32_e32 v22, v23, v22, vcc
	v_cvt_f16_f32_e32 v22, v22
	v_cvt_f16_f32_e32 v23, v27
	v_add_co_u32_e32 v8, vcc, s14, v8
	v_addc_co_u32_e32 v9, vcc, v3, v9, vcc
	s_waitcnt vmcnt(8)
	v_cvt_f32_f16_e32 v28, v32
	v_cvt_f32_f16_e32 v27, v23
	global_store_short v[8:9], v22, off
	v_fma_mix_f32 v8, -v25, v23, v24 op_sel_hi:[1,1,1]
	v_mul_f32_e32 v22, 0x3fb8aa3b, v28
	v_exp_f32_e32 v22, v22
	v_mul_f32_e64 v9, v26, -v27
	v_cmp_eq_u32_e32 vcc, 55, v0
	v_cndmask_b32_e32 v8, v9, v8, vcc
	v_cvt_f16_f32_e32 v9, v22
	v_cvt_f16_f32_e32 v8, v8
	v_add_co_u32_e32 v4, vcc, s14, v4
	v_cvt_f32_f16_e32 v22, v9
	v_addc_co_u32_e32 v5, vcc, v3, v5, vcc
	global_store_short v[4:5], v8, off
	s_waitcnt vmcnt(8)
	v_cvt_f32_f16_e32 v23, v33
	v_fma_mix_f32 v4, -v25, v9, v24 op_sel_hi:[1,1,1]
	v_mul_f32_e64 v5, v26, -v22
	v_cmp_eq_u32_e32 vcc, 56, v0
	v_mul_f32_e32 v8, 0x3fb8aa3b, v23
	v_exp_f32_e32 v8, v8
	v_cndmask_b32_e32 v4, v5, v4, vcc
	v_cvt_f16_f32_e32 v9, v4
	v_add_co_u32_e32 v4, vcc, s14, v10
	v_cvt_f16_f32_e32 v8, v8
	v_addc_co_u32_e32 v5, vcc, v3, v11, vcc
	global_store_short v[4:5], v9, off
	v_cvt_f32_f16_e32 v10, v8
	s_waitcnt vmcnt(8)
	v_cvt_f32_f16_e32 v11, v35
	v_fma_mix_f32 v4, -v25, v8, v24 op_sel_hi:[1,1,1]
	v_cmp_eq_u32_e32 vcc, 57, v0
	v_mul_f32_e64 v5, v26, -v10
	v_mul_f32_e32 v8, 0x3fb8aa3b, v11
	v_exp_f32_e32 v8, v8
	v_cndmask_b32_e32 v4, v5, v4, vcc
	v_cvt_f16_f32_e32 v9, v4
	s_waitcnt vmcnt(7)
	v_cvt_f32_f16_e32 v11, v38
	v_cvt_f16_f32_e32 v8, v8
	v_add_co_u32_e32 v4, vcc, s14, v16
	v_addc_co_u32_e32 v5, vcc, v3, v17, vcc
	v_cvt_f32_f16_e32 v10, v8
	global_store_short v[4:5], v9, off
	v_fma_mix_f32 v4, -v25, v8, v24 op_sel_hi:[1,1,1]
	v_mul_f32_e32 v8, 0x3fb8aa3b, v11
	v_exp_f32_e32 v8, v8
	v_mul_f32_e64 v5, v26, -v10
	v_cmp_eq_u32_e32 vcc, 58, v0
	v_cndmask_b32_e32 v4, v5, v4, vcc
	v_cvt_f16_f32_e32 v9, v4
	v_cvt_f16_f32_e32 v8, v8
	v_add_co_u32_e32 v4, vcc, s14, v18
	s_waitcnt vmcnt(7)
	v_cvt_f32_f16_e32 v10, v39
	v_addc_co_u32_e32 v5, vcc, v3, v19, vcc
	global_store_short v[4:5], v9, off
	v_cvt_f32_f16_e32 v4, v8
	v_fma_mix_f32 v5, -v25, v8, v24 op_sel_hi:[1,1,1]
	v_mul_f32_e32 v8, 0x3fb8aa3b, v10
	v_exp_f32_e32 v8, v8
	v_mul_f32_e64 v4, v26, -v4
	v_cmp_eq_u32_e32 vcc, 59, v0
	v_cndmask_b32_e32 v9, v4, v5, vcc
	v_cvt_f16_f32_e32 v9, v9
	v_cvt_f16_f32_e32 v8, v8
	v_add_co_u32_e32 v4, vcc, s14, v20
	v_addc_co_u32_e32 v5, vcc, v3, v21, vcc
	s_waitcnt vmcnt(7)
	v_cvt_f32_f16_e32 v10, v40
	global_store_short v[4:5], v9, off
	v_add_u32_e32 v4, 0x864e4, v2
	v_cvt_f32_f16_e32 v11, v8
	v_ashrrev_i32_e32 v5, 31, v4
	v_fma_mix_f32 v16, -v25, v8, v24 op_sel_hi:[1,1,1]
	v_lshlrev_b64 v[8:9], 1, v[4:5]
	v_add_co_u32_e32 v4, vcc, s0, v8
	v_mul_f32_e32 v10, 0x3fb8aa3b, v10
	v_addc_co_u32_e32 v5, vcc, v1, v9, vcc
	v_exp_f32_e32 v10, v10
	v_mul_f32_e64 v11, v26, -v11
	global_load_ushort v27, v[4:5], off
	v_cmp_eq_u32_e32 vcc, 60, v0
	v_cndmask_b32_e32 v4, v11, v16, vcc
	v_cvt_f16_f32_e32 v16, v4
	v_add_u32_e32 v4, 0x88700, v2
	v_ashrrev_i32_e32 v5, 31, v4
	v_cvt_f16_f32_e32 v17, v10
	v_lshlrev_b64 v[10:11], 1, v[4:5]
	v_add_co_u32_e32 v4, vcc, s0, v10
	v_addc_co_u32_e32 v5, vcc, v1, v11, vcc
	global_load_ushort v34, v[4:5], off
	v_cvt_f32_f16_e32 v18, v17
	v_add_co_u32_e32 v4, vcc, s14, v14
	v_addc_co_u32_e32 v5, vcc, v3, v15, vcc
	global_store_short v[4:5], v16, off
	v_fma_mix_f32 v4, -v25, v17, v24 op_sel_hi:[1,1,1]
	v_mul_f32_e64 v5, v26, -v18
	v_cmp_eq_u32_e32 vcc, 61, v0
	v_cndmask_b32_e32 v16, v5, v4, vcc
	v_add_u32_e32 v4, 0x8a91c, v2
	s_waitcnt vmcnt(10)
	v_cvt_f32_f16_e32 v17, v41
	v_ashrrev_i32_e32 v5, 31, v4
	v_lshlrev_b64 v[14:15], 1, v[4:5]
	v_add_co_u32_e32 v4, vcc, s0, v14
	v_addc_co_u32_e32 v5, vcc, v1, v15, vcc
	global_load_ushort v35, v[4:5], off
	v_mul_f32_e32 v4, 0x3fb8aa3b, v17
	v_exp_f32_e32 v4, v4
	v_add_co_u32_e32 v22, vcc, s14, v12
	v_addc_co_u32_e32 v23, vcc, v3, v13, vcc
	v_cvt_f16_f32_e32 v37, v4
	v_add_u32_e32 v4, 0x8cb38, v2
	v_ashrrev_i32_e32 v5, 31, v4
	v_lshlrev_b64 v[18:19], 1, v[4:5]
	v_add_co_u32_e32 v4, vcc, s0, v18
	v_addc_co_u32_e32 v5, vcc, v1, v19, vcc
	global_load_ushort v38, v[4:5], off
	v_add_u32_e32 v4, 0x8ed54, v2
	v_ashrrev_i32_e32 v5, 31, v4
	v_lshlrev_b64 v[20:21], 1, v[4:5]
	v_add_co_u32_e32 v4, vcc, s0, v20
	v_addc_co_u32_e32 v5, vcc, v1, v21, vcc
	global_load_ushort v40, v[4:5], off
	v_add_u32_e32 v4, 0x90f70, v2
	v_ashrrev_i32_e32 v5, 31, v4
	v_cvt_f16_f32_e32 v36, v16
	v_lshlrev_b64 v[16:17], 1, v[4:5]
	v_add_u32_e32 v4, 0x9318c, v2
	v_add_co_u32_e32 v28, vcc, s0, v16
	v_ashrrev_i32_e32 v5, 31, v4
	v_addc_co_u32_e32 v29, vcc, v1, v17, vcc
	v_lshlrev_b64 v[12:13], 1, v[4:5]
	v_add_u32_e32 v4, 0x953a8, v2
	v_add_co_u32_e32 v30, vcc, s0, v12
	v_ashrrev_i32_e32 v5, 31, v4
	v_addc_co_u32_e32 v31, vcc, v1, v13, vcc
	v_lshlrev_b64 v[4:5], 1, v[4:5]
	v_add_co_u32_e32 v32, vcc, s0, v4
	v_addc_co_u32_e32 v33, vcc, v1, v5, vcc
	global_load_ushort v41, v[28:29], off
	global_load_ushort v42, v[30:31], off
	;; [unrolled: 1-line block ×3, first 2 shown]
	v_cvt_f32_f16_e32 v39, v37
	global_store_short v[22:23], v36, off
	s_waitcnt vmcnt(9)
	v_cvt_f32_f16_e32 v27, v27
	v_fma_mix_f32 v22, -v25, v37, v24 op_sel_hi:[1,1,1]
	v_mul_f32_e64 v23, v26, -v39
	v_cmp_eq_u32_e32 vcc, 62, v0
	v_mul_f32_e32 v27, 0x3fb8aa3b, v27
	v_exp_f32_e32 v27, v27
	v_cndmask_b32_e32 v22, v23, v22, vcc
	v_cvt_f16_f32_e32 v22, v22
	v_add_co_u32_e32 v6, vcc, s14, v6
	v_cvt_f16_f32_e32 v23, v27
	v_addc_co_u32_e32 v7, vcc, v3, v7, vcc
	s_waitcnt vmcnt(8)
	v_cvt_f32_f16_e32 v28, v34
	global_store_short v[6:7], v22, off
	v_cvt_f32_f16_e32 v27, v23
	v_fma_mix_f32 v6, -v25, v23, v24 op_sel_hi:[1,1,1]
	v_mul_f32_e32 v22, 0x3fb8aa3b, v28
	v_exp_f32_e32 v22, v22
	v_mul_f32_e64 v7, v26, -v27
	v_cmp_eq_u32_e32 vcc, 63, v0
	v_cndmask_b32_e32 v6, v7, v6, vcc
	v_cvt_f16_f32_e32 v22, v22
	v_cvt_f16_f32_e32 v23, v6
	v_add_co_u32_e32 v6, vcc, s14, v8
	v_addc_co_u32_e32 v7, vcc, v3, v9, vcc
	v_cvt_f32_f16_e32 v8, v22
	global_store_short v[6:7], v23, off
	v_fma_mix_f32 v6, -v25, v22, v24 op_sel_hi:[1,1,1]
	s_waitcnt vmcnt(8)
	v_cvt_f32_f16_e32 v9, v35
	v_mul_f32_e64 v7, v26, -v8
	v_cmp_eq_u32_e32 vcc, 64, v0
	v_cndmask_b32_e32 v6, v7, v6, vcc
	v_mul_f32_e32 v8, 0x3fb8aa3b, v9
	v_exp_f32_e32 v8, v8
	v_cvt_f16_f32_e32 v9, v6
	v_add_co_u32_e32 v6, vcc, s14, v10
	v_cvt_f16_f32_e32 v8, v8
	v_addc_co_u32_e32 v7, vcc, v3, v11, vcc
	global_store_short v[6:7], v9, off
	v_cvt_f32_f16_e32 v6, v8
	v_fma_mix_f32 v8, -v25, v8, v24 op_sel_hi:[1,1,1]
	s_waitcnt vmcnt(8)
	v_cvt_f32_f16_e32 v7, v38
	v_cmp_eq_u32_e32 vcc, s1, v0
	v_mul_f32_e64 v6, v26, -v6
	v_cndmask_b32_e32 v6, v6, v8, vcc
	v_mul_f32_e32 v7, 0x3fb8aa3b, v7
	v_exp_f32_e32 v7, v7
	v_cvt_f16_f32_e32 v8, v6
	v_add_co_u32_e32 v6, vcc, s14, v14
	v_cvt_f16_f32_e32 v9, v7
	v_addc_co_u32_e32 v7, vcc, v3, v15, vcc
	global_store_short v[6:7], v8, off
	v_cvt_f32_f16_e32 v6, v9
	s_waitcnt vmcnt(8)
	v_cvt_f32_f16_e32 v7, v40
	s_movk_i32 s1, 0x42
	v_fma_mix_f32 v8, -v25, v9, v24 op_sel_hi:[1,1,1]
	v_mul_f32_e64 v6, v26, -v6
	v_mul_f32_e32 v7, 0x3fb8aa3b, v7
	v_cmp_eq_u32_e32 vcc, s1, v0
	v_exp_f32_e32 v7, v7
	v_cndmask_b32_e32 v6, v6, v8, vcc
	v_cvt_f16_f32_e32 v8, v6
	v_add_co_u32_e32 v6, vcc, s14, v18
	v_cvt_f16_f32_e32 v9, v7
	v_addc_co_u32_e32 v7, vcc, v3, v19, vcc
	global_store_short v[6:7], v8, off
	s_waitcnt vmcnt(8)
	v_cvt_f32_f16_e32 v7, v41
	v_cvt_f32_f16_e32 v6, v9
	s_movk_i32 s1, 0x43
	v_fma_mix_f32 v8, -v25, v9, v24 op_sel_hi:[1,1,1]
	v_mul_f32_e32 v7, 0x3fb8aa3b, v7
	v_exp_f32_e32 v7, v7
	v_mul_f32_e64 v6, v26, -v6
	v_cmp_eq_u32_e32 vcc, s1, v0
	v_cndmask_b32_e32 v6, v6, v8, vcc
	v_cvt_f16_f32_e32 v9, v7
	v_cvt_f16_f32_e32 v8, v6
	v_add_co_u32_e32 v6, vcc, s14, v20
	v_cvt_f32_f16_e32 v10, v9
	v_addc_co_u32_e32 v7, vcc, v3, v21, vcc
	global_store_short v[6:7], v8, off
	s_waitcnt vmcnt(8)
	v_cvt_f32_f16_e32 v8, v42
	s_movk_i32 s1, 0x44
	v_fma_mix_f32 v6, -v25, v9, v24 op_sel_hi:[1,1,1]
	v_mul_f32_e64 v7, v26, -v10
	v_cmp_eq_u32_e32 vcc, s1, v0
	v_cndmask_b32_e32 v6, v7, v6, vcc
	v_cvt_f16_f32_e32 v10, v6
	v_mul_f32_e32 v6, 0x3fb8aa3b, v8
	v_exp_f32_e32 v11, v6
	v_add_u32_e32 v6, 0x975c4, v2
	v_ashrrev_i32_e32 v7, 31, v6
	v_lshlrev_b64 v[6:7], 1, v[6:7]
	v_add_co_u32_e32 v8, vcc, s0, v6
	v_addc_co_u32_e32 v9, vcc, v1, v7, vcc
	global_load_ushort v27, v[8:9], off
	v_cvt_f16_f32_e32 v11, v11
	v_add_co_u32_e32 v8, vcc, s14, v16
	v_addc_co_u32_e32 v9, vcc, v3, v17, vcc
	global_store_short v[8:9], v10, off
	v_add_u32_e32 v8, 0x997e0, v2
	v_cvt_f32_f16_e32 v10, v11
	v_ashrrev_i32_e32 v9, 31, v8
	v_lshlrev_b64 v[14:15], 1, v[8:9]
	v_add_co_u32_e32 v8, vcc, s0, v14
	v_addc_co_u32_e32 v9, vcc, v1, v15, vcc
	global_load_ushort v32, v[8:9], off
	v_mul_f32_e64 v9, v26, -v10
	s_waitcnt vmcnt(10)
	v_cvt_f32_f16_e32 v10, v43
	s_movk_i32 s1, 0x45
	v_fma_mix_f32 v8, -v25, v11, v24 op_sel_hi:[1,1,1]
	v_cmp_eq_u32_e32 vcc, s1, v0
	v_cndmask_b32_e32 v8, v9, v8, vcc
	v_cvt_f16_f32_e32 v16, v8
	v_mul_f32_e32 v8, 0x3fb8aa3b, v10
	v_exp_f32_e32 v17, v8
	v_add_u32_e32 v8, 0x9b9fc, v2
	v_ashrrev_i32_e32 v9, 31, v8
	v_lshlrev_b64 v[10:11], 1, v[8:9]
	v_add_co_u32_e32 v8, vcc, s0, v10
	v_addc_co_u32_e32 v9, vcc, v1, v11, vcc
	global_load_ushort v33, v[8:9], off
	v_add_co_u32_e32 v8, vcc, s14, v12
	v_addc_co_u32_e32 v9, vcc, v3, v13, vcc
	global_store_short v[8:9], v16, off
	v_add_u32_e32 v8, 0x9dc18, v2
	v_ashrrev_i32_e32 v9, 31, v8
	v_lshlrev_b64 v[8:9], 1, v[8:9]
	v_add_co_u32_e32 v12, vcc, s0, v8
	v_addc_co_u32_e32 v13, vcc, v1, v9, vcc
	global_load_ushort v36, v[12:13], off
	v_add_u32_e32 v12, 0x9fe34, v2
	v_ashrrev_i32_e32 v13, 31, v12
	v_lshlrev_b64 v[12:13], 1, v[12:13]
	v_add_co_u32_e32 v16, vcc, s0, v12
	v_cvt_f16_f32_e32 v34, v17
	v_addc_co_u32_e32 v17, vcc, v1, v13, vcc
	global_load_ushort v37, v[16:17], off
	v_add_u32_e32 v16, 0xa2050, v2
	v_ashrrev_i32_e32 v17, 31, v16
	v_lshlrev_b64 v[16:17], 1, v[16:17]
	v_add_u32_e32 v18, 0xa426c, v2
	v_add_co_u32_e32 v22, vcc, s0, v16
	v_ashrrev_i32_e32 v19, 31, v18
	v_addc_co_u32_e32 v23, vcc, v1, v17, vcc
	v_lshlrev_b64 v[18:19], 1, v[18:19]
	v_add_u32_e32 v20, 0xa6488, v2
	v_add_co_u32_e32 v28, vcc, s0, v18
	v_ashrrev_i32_e32 v21, 31, v20
	v_addc_co_u32_e32 v29, vcc, v1, v19, vcc
	v_lshlrev_b64 v[20:21], 1, v[20:21]
	v_add_co_u32_e32 v30, vcc, s0, v20
	v_addc_co_u32_e32 v31, vcc, v1, v21, vcc
	global_load_ushort v38, v[22:23], off
	global_load_ushort v39, v[28:29], off
	;; [unrolled: 1-line block ×3, first 2 shown]
	v_cvt_f32_f16_e32 v35, v34
	s_movk_i32 s1, 0x46
	v_fma_mix_f32 v23, -v25, v34, v24 op_sel_hi:[1,1,1]
	s_waitcnt vmcnt(9)
	v_cvt_f32_f16_e32 v22, v27
	v_mul_f32_e64 v27, v26, -v35
	v_cmp_eq_u32_e32 vcc, s1, v0
	v_cndmask_b32_e32 v23, v27, v23, vcc
	v_mul_f32_e32 v22, 0x3fb8aa3b, v22
	v_exp_f32_e32 v22, v22
	v_cvt_f16_f32_e32 v23, v23
	v_add_co_u32_e32 v4, vcc, s14, v4
	v_cvt_f16_f32_e32 v22, v22
	v_addc_co_u32_e32 v5, vcc, v3, v5, vcc
	global_store_short v[4:5], v23, off
	v_cvt_f32_f16_e32 v4, v22
	s_movk_i32 s1, 0x47
	s_waitcnt vmcnt(8)
	v_cvt_f32_f16_e32 v5, v32
	v_fma_mix_f32 v22, -v25, v22, v24 op_sel_hi:[1,1,1]
	v_mul_f32_e64 v4, v26, -v4
	v_cmp_eq_u32_e32 vcc, s1, v0
	v_mul_f32_e32 v5, 0x3fb8aa3b, v5
	v_exp_f32_e32 v5, v5
	v_cndmask_b32_e32 v4, v4, v22, vcc
	v_cvt_f16_f32_e32 v22, v4
	v_add_co_u32_e32 v4, vcc, s14, v6
	v_cvt_f16_f32_e32 v23, v5
	v_addc_co_u32_e32 v5, vcc, v3, v7, vcc
	global_store_short v[4:5], v22, off
	v_cvt_f32_f16_e32 v4, v23
	s_movk_i32 s1, 0x48
	v_fma_mix_f32 v6, -v25, v23, v24 op_sel_hi:[1,1,1]
	s_waitcnt vmcnt(8)
	v_cvt_f32_f16_e32 v5, v33
	v_mul_f32_e64 v4, v26, -v4
	v_cmp_eq_u32_e32 vcc, s1, v0
	v_cndmask_b32_e32 v4, v4, v6, vcc
	v_mul_f32_e32 v5, 0x3fb8aa3b, v5
	v_exp_f32_e32 v5, v5
	v_cvt_f16_f32_e32 v6, v4
	v_add_co_u32_e32 v4, vcc, s14, v14
	v_cvt_f16_f32_e32 v7, v5
	v_addc_co_u32_e32 v5, vcc, v3, v15, vcc
	global_store_short v[4:5], v6, off
	v_cvt_f32_f16_e32 v14, v7
	s_waitcnt vmcnt(7)
	v_cvt_f32_f16_e32 v6, v36
	s_movk_i32 s1, 0x49
	v_fma_mix_f32 v4, -v25, v7, v24 op_sel_hi:[1,1,1]
	v_mul_f32_e64 v5, v26, -v14
	v_cmp_eq_u32_e32 vcc, s1, v0
	v_cndmask_b32_e32 v4, v5, v4, vcc
	v_cvt_f16_f32_e32 v14, v4
	v_mul_f32_e32 v4, 0x3fb8aa3b, v6
	v_exp_f32_e32 v15, v4
	v_add_u32_e32 v4, 0xa86a4, v2
	v_ashrrev_i32_e32 v5, 31, v4
	v_lshlrev_b64 v[4:5], 1, v[4:5]
	v_add_co_u32_e32 v6, vcc, s0, v4
	v_addc_co_u32_e32 v7, vcc, v1, v5, vcc
	global_load_ushort v22, v[6:7], off
	v_add_co_u32_e32 v6, vcc, s14, v10
	v_addc_co_u32_e32 v7, vcc, v3, v11, vcc
	global_store_short v[6:7], v14, off
	v_add_u32_e32 v6, 0xaa8c0, v2
	v_ashrrev_i32_e32 v7, 31, v6
	v_lshlrev_b64 v[6:7], 1, v[6:7]
	v_add_co_u32_e32 v10, vcc, s0, v6
	v_addc_co_u32_e32 v11, vcc, v1, v7, vcc
	global_load_ushort v1, v[10:11], off
	v_cvt_f16_f32_e32 v15, v15
	s_waitcnt vmcnt(9)
	v_cvt_f32_f16_e32 v23, v37
	s_movk_i32 s0, 0x4a
	v_cmp_eq_u32_e32 vcc, s0, v0
	v_cvt_f32_f16_e32 v14, v15
	v_mul_f32_e32 v11, 0x3fb8aa3b, v23
	v_exp_f32_e32 v11, v11
	v_fma_mix_f32 v2, -v25, v15, v24 op_sel_hi:[1,1,1]
	v_mul_f32_e64 v10, v26, -v14
	v_cndmask_b32_e32 v2, v10, v2, vcc
	v_cvt_f16_f32_e32 v2, v2
	v_cvt_f16_f32_e32 v10, v11
	v_add_co_u32_e32 v8, vcc, s14, v8
	v_addc_co_u32_e32 v9, vcc, v3, v9, vcc
	global_store_short v[8:9], v2, off
	s_waitcnt vmcnt(9)
	v_cvt_f32_f16_e32 v8, v38
	v_cvt_f32_f16_e32 v2, v10
	s_movk_i32 s0, 0x4b
	v_fma_mix_f32 v9, -v25, v10, v24 op_sel_hi:[1,1,1]
	v_mul_f32_e32 v8, 0x3fb8aa3b, v8
	v_mul_f32_e64 v2, v26, -v2
	v_exp_f32_e32 v8, v8
	v_cmp_eq_u32_e32 vcc, s0, v0
	v_cndmask_b32_e32 v2, v2, v9, vcc
	v_cvt_f16_f32_e32 v2, v2
	v_cvt_f16_f32_e32 v10, v8
	v_add_co_u32_e32 v8, vcc, s14, v12
	v_addc_co_u32_e32 v9, vcc, v3, v13, vcc
	global_store_short v[8:9], v2, off
	s_waitcnt vmcnt(9)
	v_cvt_f32_f16_e32 v8, v39
	v_cvt_f32_f16_e32 v2, v10
	s_movk_i32 s0, 0x4c
	v_fma_mix_f32 v9, -v25, v10, v24 op_sel_hi:[1,1,1]
	v_mul_f32_e32 v8, 0x3fb8aa3b, v8
	v_exp_f32_e32 v8, v8
	v_mul_f32_e64 v2, v26, -v2
	v_cmp_eq_u32_e32 vcc, s0, v0
	v_cndmask_b32_e32 v2, v2, v9, vcc
	v_cvt_f16_f32_e32 v2, v2
	v_cvt_f16_f32_e32 v10, v8
	v_add_co_u32_e32 v8, vcc, s14, v16
	v_addc_co_u32_e32 v9, vcc, v3, v17, vcc
	global_store_short v[8:9], v2, off
	s_waitcnt vmcnt(9)
	v_cvt_f32_f16_e32 v8, v40
	v_cvt_f32_f16_e32 v2, v10
	s_movk_i32 s0, 0x4d
	v_fma_mix_f32 v9, -v25, v10, v24 op_sel_hi:[1,1,1]
	v_mul_f32_e32 v8, 0x3fb8aa3b, v8
	v_mul_f32_e64 v2, v26, -v2
	v_exp_f32_e32 v8, v8
	v_cmp_eq_u32_e32 vcc, s0, v0
	v_cndmask_b32_e32 v2, v2, v9, vcc
	v_cvt_f16_f32_e32 v2, v2
	v_cvt_f16_f32_e32 v10, v8
	v_add_co_u32_e32 v8, vcc, s14, v18
	v_addc_co_u32_e32 v9, vcc, v3, v19, vcc
	global_store_short v[8:9], v2, off
	v_cvt_f32_f16_e32 v2, v10
	s_waitcnt vmcnt(6)
	v_cvt_f32_f16_e32 v8, v22
	s_movk_i32 s0, 0x4e
	v_fma_mix_f32 v9, -v25, v10, v24 op_sel_hi:[1,1,1]
	v_mul_f32_e64 v2, v26, -v2
	v_mul_f32_e32 v8, 0x3fb8aa3b, v8
	v_exp_f32_e32 v8, v8
	v_cmp_eq_u32_e32 vcc, s0, v0
	v_cndmask_b32_e32 v2, v2, v9, vcc
	v_cvt_f16_f32_e32 v2, v2
	v_cvt_f16_f32_e32 v10, v8
	v_add_co_u32_e32 v8, vcc, s14, v20
	v_addc_co_u32_e32 v9, vcc, v3, v21, vcc
	s_waitcnt vmcnt(4)
	v_cvt_f32_f16_e32 v1, v1
	global_store_short v[8:9], v2, off
	v_cvt_f32_f16_e32 v2, v10
	s_movk_i32 s0, 0x4f
	v_mul_f32_e32 v1, 0x3fb8aa3b, v1
	v_exp_f32_e32 v1, v1
	v_fma_mix_f32 v8, -v25, v10, v24 op_sel_hi:[1,1,1]
	v_mul_f32_e64 v2, v26, -v2
	v_cmp_eq_u32_e32 vcc, s0, v0
	v_cvt_f16_f32_e32 v1, v1
	v_cndmask_b32_e32 v2, v2, v8, vcc
	v_cvt_f16_f32_e32 v2, v2
	v_add_co_u32_e32 v4, vcc, s14, v4
	v_cvt_f32_f16_e32 v8, v1
	v_addc_co_u32_e32 v5, vcc, v3, v5, vcc
	s_movk_i32 s0, 0x50
	global_store_short v[4:5], v2, off
	v_fma_mix_f32 v1, -v25, v1, v24 op_sel_hi:[1,1,1]
	v_mul_f32_e64 v2, v26, -v8
	v_cmp_eq_u32_e32 vcc, s0, v0
	v_cndmask_b32_e32 v0, v2, v1, vcc
	v_cvt_f16_f32_e32 v2, v0
	v_add_co_u32_e32 v0, vcc, s14, v6
	v_addc_co_u32_e32 v1, vcc, v3, v7, vcc
	global_store_short v[0:1], v2, off
.LBB0_4:
	s_endpgm
	.section	.rodata,"a",@progbits
	.p2align	6, 0x0
	.amdhsa_kernel _Z8loss_bwdI6__halfS0_EvPKT_PKT0_S6_PKlS3_S8_PS4_
		.amdhsa_group_segment_fixed_size 0
		.amdhsa_private_segment_fixed_size 0
		.amdhsa_kernarg_size 56
		.amdhsa_user_sgpr_count 6
		.amdhsa_user_sgpr_private_segment_buffer 1
		.amdhsa_user_sgpr_dispatch_ptr 0
		.amdhsa_user_sgpr_queue_ptr 0
		.amdhsa_user_sgpr_kernarg_segment_ptr 1
		.amdhsa_user_sgpr_dispatch_id 0
		.amdhsa_user_sgpr_flat_scratch_init 0
		.amdhsa_user_sgpr_kernarg_preload_length 0
		.amdhsa_user_sgpr_kernarg_preload_offset 0
		.amdhsa_user_sgpr_private_segment_size 0
		.amdhsa_uses_dynamic_stack 0
		.amdhsa_system_sgpr_private_segment_wavefront_offset 0
		.amdhsa_system_sgpr_workgroup_id_x 1
		.amdhsa_system_sgpr_workgroup_id_y 1
		.amdhsa_system_sgpr_workgroup_id_z 0
		.amdhsa_system_sgpr_workgroup_info 0
		.amdhsa_system_vgpr_workitem_id 0
		.amdhsa_next_free_vgpr 44
		.amdhsa_next_free_sgpr 16
		.amdhsa_accum_offset 44
		.amdhsa_reserve_vcc 1
		.amdhsa_reserve_flat_scratch 0
		.amdhsa_float_round_mode_32 0
		.amdhsa_float_round_mode_16_64 0
		.amdhsa_float_denorm_mode_32 3
		.amdhsa_float_denorm_mode_16_64 3
		.amdhsa_dx10_clamp 1
		.amdhsa_ieee_mode 1
		.amdhsa_fp16_overflow 0
		.amdhsa_tg_split 0
		.amdhsa_exception_fp_ieee_invalid_op 0
		.amdhsa_exception_fp_denorm_src 0
		.amdhsa_exception_fp_ieee_div_zero 0
		.amdhsa_exception_fp_ieee_overflow 0
		.amdhsa_exception_fp_ieee_underflow 0
		.amdhsa_exception_fp_ieee_inexact 0
		.amdhsa_exception_int_div_zero 0
	.end_amdhsa_kernel
	.text
.Lfunc_end0:
	.size	_Z8loss_bwdI6__halfS0_EvPKT_PKT0_S6_PKlS3_S8_PS4_, .Lfunc_end0-_Z8loss_bwdI6__halfS0_EvPKT_PKT0_S6_PKlS3_S8_PS4_
                                        ; -- End function
	.section	.AMDGPU.csdata,"",@progbits
; Kernel info:
; codeLenInByte = 9108
; NumSgprs: 20
; NumVgprs: 44
; NumAgprs: 0
; TotalNumVgprs: 44
; ScratchSize: 0
; MemoryBound: 0
; FloatMode: 240
; IeeeMode: 1
; LDSByteSize: 0 bytes/workgroup (compile time only)
; SGPRBlocks: 2
; VGPRBlocks: 5
; NumSGPRsForWavesPerEU: 20
; NumVGPRsForWavesPerEU: 44
; AccumOffset: 44
; Occupancy: 8
; WaveLimiterHint : 1
; COMPUTE_PGM_RSRC2:SCRATCH_EN: 0
; COMPUTE_PGM_RSRC2:USER_SGPR: 6
; COMPUTE_PGM_RSRC2:TRAP_HANDLER: 0
; COMPUTE_PGM_RSRC2:TGID_X_EN: 1
; COMPUTE_PGM_RSRC2:TGID_Y_EN: 1
; COMPUTE_PGM_RSRC2:TGID_Z_EN: 0
; COMPUTE_PGM_RSRC2:TIDIG_COMP_CNT: 0
; COMPUTE_PGM_RSRC3_GFX90A:ACCUM_OFFSET: 10
; COMPUTE_PGM_RSRC3_GFX90A:TG_SPLIT: 0
	.section	.text._Z8loss_bwdIffEvPKT_PKT0_S5_PKlS2_S7_PS3_,"axG",@progbits,_Z8loss_bwdIffEvPKT_PKT0_S5_PKlS2_S7_PS3_,comdat
	.protected	_Z8loss_bwdIffEvPKT_PKT0_S5_PKlS2_S7_PS3_ ; -- Begin function _Z8loss_bwdIffEvPKT_PKT0_S5_PKlS2_S7_PS3_
	.globl	_Z8loss_bwdIffEvPKT_PKT0_S5_PKlS2_S7_PS3_
	.p2align	8
	.type	_Z8loss_bwdIffEvPKT_PKT0_S5_PKlS2_S7_PS3_,@function
_Z8loss_bwdIffEvPKT_PKT0_S5_PKlS2_S7_PS3_: ; @_Z8loss_bwdIffEvPKT_PKT0_S5_PKlS2_S7_PS3_
; %bb.0:
	v_lshl_add_u32 v0, s6, 6, v0
	s_movk_i32 s0, 0x221c
	v_cmp_gt_i32_e32 vcc, s0, v0
	s_and_saveexec_b64 s[0:1], vcc
	s_cbranch_execz .LBB1_4
; %bb.1:
	s_load_dwordx4 s[0:3], s[4:5], 0x0
	s_load_dwordx8 s[8:15], s[4:5], 0x18
	s_mul_i32 s6, s7, 0x221c
	v_add_u32_e32 v2, s6, v0
	v_ashrrev_i32_e32 v3, 31, v2
	v_lshlrev_b64 v[4:5], 3, v[2:3]
	s_waitcnt lgkmcnt(0)
	v_mov_b32_e32 v1, s9
	v_add_co_u32_e32 v0, vcc, s8, v4
	v_addc_co_u32_e32 v1, vcc, v1, v5, vcc
	global_load_dwordx2 v[0:1], v[0:1], off
	s_waitcnt vmcnt(0)
	v_mov_b32_e32 v1, s13
	v_add_co_u32_e32 v4, vcc, s12, v4
	v_addc_co_u32_e32 v5, vcc, v1, v5, vcc
	global_load_dwordx2 v[6:7], v[4:5], off
	v_lshlrev_b64 v[4:5], 2, v[2:3]
	v_mov_b32_e32 v1, s3
	v_add_co_u32_e32 v8, vcc, s2, v4
	v_addc_co_u32_e32 v9, vcc, v1, v5, vcc
	global_load_dword v12, v[8:9], off
	s_waitcnt vmcnt(1)
	v_cmp_ne_u64_e32 vcc, 0, v[6:7]
	s_and_saveexec_b64 s[2:3], vcc
	s_cbranch_execz .LBB1_3
; %bb.2:
	s_load_dwordx2 s[4:5], s[4:5], 0x10
	s_waitcnt lgkmcnt(0)
	v_mov_b32_e32 v1, s5
	v_add_co_u32_e32 v6, vcc, s4, v4
	v_addc_co_u32_e32 v7, vcc, v1, v5, vcc
	global_load_dword v1, v[6:7], off
	s_waitcnt vmcnt(0)
	v_add_f32_e32 v12, v12, v1
.LBB1_3:
	s_or_b64 exec, exec, s[2:3]
	s_mul_i32 s7, s7, 0xaa8c0
	v_add_u32_e32 v2, s7, v2
	s_movk_i32 s2, 0x221c
	v_mad_u64_u32 v[6:7], s[2:3], v0, s2, v[2:3]
	v_mov_b32_e32 v1, s11
	v_add_co_u32_e32 v4, vcc, s10, v4
	v_addc_co_u32_e32 v5, vcc, v1, v5, vcc
	v_ashrrev_i32_e32 v7, 31, v6
	v_ashrrev_i32_e32 v3, 31, v2
	global_load_dword v13, v[4:5], off
	v_lshlrev_b64 v[4:5], 2, v[6:7]
	v_lshlrev_b64 v[6:7], 2, v[2:3]
	v_add_u32_e32 v10, 0x221c, v2
	v_mov_b32_e32 v1, s1
	v_add_co_u32_e32 v8, vcc, s0, v6
	v_ashrrev_i32_e32 v11, 31, v10
	v_addc_co_u32_e32 v9, vcc, v1, v7, vcc
	v_lshlrev_b64 v[10:11], 2, v[10:11]
	v_add_co_u32_e32 v14, vcc, s0, v10
	v_addc_co_u32_e32 v15, vcc, v1, v11, vcc
	v_add_co_u32_e32 v4, vcc, s0, v4
	global_load_dword v23, v[8:9], off
	global_load_dword v24, v[14:15], off
	v_addc_co_u32_e32 v5, vcc, v1, v5, vcc
	global_load_dword v25, v[4:5], off
	v_add_u32_e32 v4, 0x4438, v2
	v_ashrrev_i32_e32 v5, 31, v4
	v_lshlrev_b64 v[14:15], 2, v[4:5]
	v_add_co_u32_e32 v4, vcc, s0, v14
	v_addc_co_u32_e32 v5, vcc, v1, v15, vcc
	global_load_dword v26, v[4:5], off
	v_add_u32_e32 v4, 0x6654, v2
	v_ashrrev_i32_e32 v5, 31, v4
	v_lshlrev_b64 v[16:17], 2, v[4:5]
	v_add_co_u32_e32 v4, vcc, s0, v16
	;; [unrolled: 6-line block ×4, first 2 shown]
	v_addc_co_u32_e32 v19, vcc, v1, v5, vcc
	global_load_dword v29, v[18:19], off
	v_add_u32_e32 v18, 0xcca8, v2
	v_mov_b32_e32 v3, s15
	v_ashrrev_i32_e32 v19, 31, v18
	v_add_co_u32_e32 v20, vcc, s14, v6
	v_addc_co_u32_e32 v21, vcc, v3, v7, vcc
	v_lshlrev_b64 v[6:7], 2, v[18:19]
	v_add_co_u32_e32 v18, vcc, s0, v6
	v_addc_co_u32_e32 v19, vcc, v1, v7, vcc
	global_load_dword v30, v[18:19], off
	v_cmp_eq_u32_e32 vcc, 0, v0
	s_movk_i32 s1, 0x41
	s_waitcnt vmcnt(8)
	v_mul_f32_e64 v22, v13, -v12
	s_waitcnt vmcnt(7)
	v_mul_f32_e32 v12, 0x3fb8aa3b, v23
	v_exp_f32_e32 v12, v12
	s_waitcnt vmcnt(6)
	v_mul_f32_e32 v13, 0x3fb8aa3b, v24
	v_exp_f32_e32 v13, v13
	s_waitcnt vmcnt(5)
	v_mul_f32_e32 v23, v22, v25
	v_fma_f32 v18, -v23, v12, v22
	v_mul_f32_e64 v12, v23, -v12
	v_cndmask_b32_e32 v12, v12, v18, vcc
	global_store_dword v[20:21], v12, off
	v_fma_f32 v19, -v23, v13, v22
	v_mul_f32_e64 v13, v23, -v13
	v_cmp_eq_u32_e32 vcc, 1, v0
	s_waitcnt vmcnt(5)
	v_mul_f32_e32 v12, 0x3fb8aa3b, v26
	v_exp_f32_e32 v12, v12
	v_cndmask_b32_e32 v13, v13, v19, vcc
	v_add_co_u32_e32 v10, vcc, s14, v10
	v_addc_co_u32_e32 v11, vcc, v3, v11, vcc
	global_store_dword v[10:11], v13, off
	v_fma_f32 v10, -v23, v12, v22
	v_mul_f32_e64 v11, v23, -v12
	v_cmp_eq_u32_e32 vcc, 2, v0
	v_cndmask_b32_e32 v12, v11, v10, vcc
	s_waitcnt vmcnt(5)
	v_mul_f32_e32 v10, 0x3fb8aa3b, v27
	v_exp_f32_e32 v13, v10
	v_add_co_u32_e32 v10, vcc, s14, v14
	v_addc_co_u32_e32 v11, vcc, v3, v15, vcc
	global_store_dword v[10:11], v12, off
	v_fma_f32 v10, -v23, v13, v22
	v_mul_f32_e64 v11, v23, -v13
	v_cmp_eq_u32_e32 vcc, 3, v0
	v_cndmask_b32_e32 v12, v11, v10, vcc
	s_waitcnt vmcnt(5)
	v_mul_f32_e32 v10, 0x3fb8aa3b, v28
	v_exp_f32_e32 v13, v10
	v_add_co_u32_e32 v10, vcc, s14, v16
	v_addc_co_u32_e32 v11, vcc, v3, v17, vcc
	global_store_dword v[10:11], v12, off
	v_add_u32_e32 v10, 0xeec4, v2
	v_ashrrev_i32_e32 v11, 31, v10
	v_lshlrev_b64 v[10:11], 2, v[10:11]
	v_add_co_u32_e32 v12, vcc, s0, v10
	v_fma_f32 v14, -v23, v13, v22
	v_mul_f32_e64 v15, v23, -v13
	v_addc_co_u32_e32 v13, vcc, v1, v11, vcc
	global_load_dword v26, v[12:13], off
	s_waitcnt vmcnt(6)
	v_mul_f32_e32 v12, 0x3fb8aa3b, v29
	v_exp_f32_e32 v20, v12
	v_add_u32_e32 v12, 0x110e0, v2
	v_cmp_eq_u32_e32 vcc, 4, v0
	v_ashrrev_i32_e32 v13, 31, v12
	v_cndmask_b32_e32 v18, v15, v14, vcc
	v_lshlrev_b64 v[14:15], 2, v[12:13]
	v_add_co_u32_e32 v12, vcc, s0, v14
	v_addc_co_u32_e32 v13, vcc, v1, v15, vcc
	global_load_dword v27, v[12:13], off
	v_add_u32_e32 v12, 0x132fc, v2
	v_ashrrev_i32_e32 v13, 31, v12
	v_lshlrev_b64 v[16:17], 2, v[12:13]
	v_add_co_u32_e32 v12, vcc, s0, v16
	v_addc_co_u32_e32 v13, vcc, v1, v17, vcc
	v_add_co_u32_e32 v8, vcc, s14, v8
	global_load_dword v28, v[12:13], off
	v_addc_co_u32_e32 v9, vcc, v3, v9, vcc
	global_store_dword v[8:9], v18, off
	v_add_u32_e32 v8, 0x15518, v2
	v_ashrrev_i32_e32 v9, 31, v8
	v_lshlrev_b64 v[18:19], 2, v[8:9]
	v_add_co_u32_e32 v8, vcc, s0, v18
	v_addc_co_u32_e32 v9, vcc, v1, v19, vcc
	global_load_dword v29, v[8:9], off
	v_fma_f32 v12, -v23, v20, v22
	v_mul_f32_e64 v8, v23, -v20
	v_cmp_eq_u32_e32 vcc, 5, v0
	v_cndmask_b32_e32 v24, v8, v12, vcc
	v_add_u32_e32 v8, 0x17734, v2
	v_ashrrev_i32_e32 v9, 31, v8
	v_lshlrev_b64 v[20:21], 2, v[8:9]
	v_add_co_u32_e32 v8, vcc, s0, v20
	v_addc_co_u32_e32 v9, vcc, v1, v21, vcc
	global_load_dword v31, v[8:9], off
	s_waitcnt vmcnt(10)
	v_mul_f32_e32 v8, 0x3fb8aa3b, v30
	v_exp_f32_e32 v25, v8
	v_add_u32_e32 v8, 0x19950, v2
	v_ashrrev_i32_e32 v9, 31, v8
	v_lshlrev_b64 v[12:13], 2, v[8:9]
	v_add_co_u32_e32 v8, vcc, s0, v12
	v_addc_co_u32_e32 v9, vcc, v1, v13, vcc
	global_load_dword v30, v[8:9], off
	v_add_co_u32_e32 v4, vcc, s14, v4
	v_addc_co_u32_e32 v5, vcc, v3, v5, vcc
	global_store_dword v[4:5], v24, off
	v_fma_f32 v4, -v23, v25, v22
	v_mul_f32_e64 v5, v23, -v25
	v_cmp_eq_u32_e32 vcc, 6, v0
	v_cndmask_b32_e32 v32, v5, v4, vcc
	v_add_u32_e32 v4, 0x1bb6c, v2
	v_ashrrev_i32_e32 v5, 31, v4
	v_lshlrev_b64 v[8:9], 2, v[4:5]
	v_add_co_u32_e32 v4, vcc, s0, v8
	v_addc_co_u32_e32 v5, vcc, v1, v9, vcc
	global_load_dword v33, v[4:5], off
	v_add_u32_e32 v4, 0x1dd88, v2
	v_ashrrev_i32_e32 v5, 31, v4
	v_lshlrev_b64 v[4:5], 2, v[4:5]
	v_add_co_u32_e32 v24, vcc, s0, v4
	v_addc_co_u32_e32 v25, vcc, v1, v5, vcc
	global_load_dword v24, v[24:25], off
	s_waitcnt vmcnt(9)
	v_mul_f32_e32 v25, 0x3fb8aa3b, v26
	v_exp_f32_e32 v25, v25
	v_add_co_u32_e32 v6, vcc, s14, v6
	v_addc_co_u32_e32 v7, vcc, v3, v7, vcc
	global_store_dword v[6:7], v32, off
	v_fma_f32 v6, -v23, v25, v22
	v_mul_f32_e64 v7, v23, -v25
	v_cmp_eq_u32_e32 vcc, 7, v0
	v_cndmask_b32_e32 v25, v7, v6, vcc
	s_waitcnt vmcnt(9)
	v_mul_f32_e32 v6, 0x3fb8aa3b, v27
	v_exp_f32_e32 v26, v6
	v_add_co_u32_e32 v6, vcc, s14, v10
	v_addc_co_u32_e32 v7, vcc, v3, v11, vcc
	global_store_dword v[6:7], v25, off
	v_fma_f32 v6, -v23, v26, v22
	v_mul_f32_e64 v7, v23, -v26
	v_cmp_eq_u32_e32 vcc, 8, v0
	v_cndmask_b32_e32 v10, v7, v6, vcc
	;; [unrolled: 10-line block ×5, first 2 shown]
	s_waitcnt vmcnt(8)
	v_mul_f32_e32 v6, 0x3fb8aa3b, v30
	v_exp_f32_e32 v11, v6
	v_add_co_u32_e32 v6, vcc, s14, v20
	v_addc_co_u32_e32 v7, vcc, v3, v21, vcc
	global_store_dword v[6:7], v10, off
	v_add_u32_e32 v6, 0x1ffa4, v2
	v_ashrrev_i32_e32 v7, 31, v6
	v_fma_f32 v14, -v23, v11, v22
	v_mul_f32_e64 v15, v23, -v11
	v_lshlrev_b64 v[10:11], 2, v[6:7]
	v_add_co_u32_e32 v6, vcc, s0, v10
	v_addc_co_u32_e32 v7, vcc, v1, v11, vcc
	global_load_dword v26, v[6:7], off
	s_waitcnt vmcnt(8)
	v_mul_f32_e32 v6, 0x3fb8aa3b, v33
	v_exp_f32_e32 v20, v6
	v_add_u32_e32 v6, 0x221c0, v2
	v_cmp_eq_u32_e32 vcc, 12, v0
	v_ashrrev_i32_e32 v7, 31, v6
	v_cndmask_b32_e32 v18, v15, v14, vcc
	v_lshlrev_b64 v[14:15], 2, v[6:7]
	v_add_co_u32_e32 v6, vcc, s0, v14
	v_addc_co_u32_e32 v7, vcc, v1, v15, vcc
	global_load_dword v27, v[6:7], off
	v_add_u32_e32 v6, 0x243dc, v2
	v_ashrrev_i32_e32 v7, 31, v6
	v_lshlrev_b64 v[16:17], 2, v[6:7]
	v_add_co_u32_e32 v6, vcc, s0, v16
	v_addc_co_u32_e32 v7, vcc, v1, v17, vcc
	global_load_dword v28, v[6:7], off
	v_add_co_u32_e32 v6, vcc, s14, v12
	v_addc_co_u32_e32 v7, vcc, v3, v13, vcc
	global_store_dword v[6:7], v18, off
	v_add_u32_e32 v6, 0x265f8, v2
	v_ashrrev_i32_e32 v7, 31, v6
	v_lshlrev_b64 v[18:19], 2, v[6:7]
	v_add_co_u32_e32 v6, vcc, s0, v18
	v_addc_co_u32_e32 v7, vcc, v1, v19, vcc
	v_fma_f32 v12, -v23, v20, v22
	global_load_dword v29, v[6:7], off
	v_mul_f32_e64 v6, v23, -v20
	v_cmp_eq_u32_e32 vcc, 13, v0
	v_cndmask_b32_e32 v25, v6, v12, vcc
	v_add_u32_e32 v6, 0x28814, v2
	v_ashrrev_i32_e32 v7, 31, v6
	v_lshlrev_b64 v[20:21], 2, v[6:7]
	v_add_co_u32_e32 v6, vcc, s0, v20
	v_addc_co_u32_e32 v7, vcc, v1, v21, vcc
	global_load_dword v30, v[6:7], off
	s_waitcnt vmcnt(12)
	v_mul_f32_e32 v6, 0x3fb8aa3b, v24
	v_exp_f32_e32 v24, v6
	v_add_u32_e32 v6, 0x2aa30, v2
	v_ashrrev_i32_e32 v7, 31, v6
	v_lshlrev_b64 v[12:13], 2, v[6:7]
	v_add_co_u32_e32 v6, vcc, s0, v12
	v_addc_co_u32_e32 v7, vcc, v1, v13, vcc
	global_load_dword v31, v[6:7], off
	v_add_co_u32_e32 v6, vcc, s14, v8
	v_addc_co_u32_e32 v7, vcc, v3, v9, vcc
	global_store_dword v[6:7], v25, off
	v_fma_f32 v6, -v23, v24, v22
	v_mul_f32_e64 v7, v23, -v24
	v_cmp_eq_u32_e32 vcc, 14, v0
	v_cndmask_b32_e32 v32, v7, v6, vcc
	v_add_u32_e32 v6, 0x2cc4c, v2
	v_ashrrev_i32_e32 v7, 31, v6
	v_lshlrev_b64 v[8:9], 2, v[6:7]
	v_add_co_u32_e32 v6, vcc, s0, v8
	v_addc_co_u32_e32 v7, vcc, v1, v9, vcc
	global_load_dword v33, v[6:7], off
	v_add_u32_e32 v6, 0x2ee68, v2
	v_ashrrev_i32_e32 v7, 31, v6
	v_lshlrev_b64 v[6:7], 2, v[6:7]
	v_add_co_u32_e32 v24, vcc, s0, v6
	v_addc_co_u32_e32 v25, vcc, v1, v7, vcc
	global_load_dword v24, v[24:25], off
	s_waitcnt vmcnt(9)
	v_mul_f32_e32 v25, 0x3fb8aa3b, v26
	v_exp_f32_e32 v25, v25
	v_add_co_u32_e32 v4, vcc, s14, v4
	v_addc_co_u32_e32 v5, vcc, v3, v5, vcc
	global_store_dword v[4:5], v32, off
	v_fma_f32 v4, -v23, v25, v22
	v_mul_f32_e64 v5, v23, -v25
	v_cmp_eq_u32_e32 vcc, 15, v0
	v_cndmask_b32_e32 v25, v5, v4, vcc
	s_waitcnt vmcnt(9)
	v_mul_f32_e32 v4, 0x3fb8aa3b, v27
	v_exp_f32_e32 v26, v4
	v_add_co_u32_e32 v4, vcc, s14, v10
	v_addc_co_u32_e32 v5, vcc, v3, v11, vcc
	global_store_dword v[4:5], v25, off
	v_fma_f32 v4, -v23, v26, v22
	v_mul_f32_e64 v5, v23, -v26
	v_cmp_eq_u32_e32 vcc, 16, v0
	v_cndmask_b32_e32 v10, v5, v4, vcc
	;; [unrolled: 10-line block ×5, first 2 shown]
	s_waitcnt vmcnt(8)
	v_mul_f32_e32 v4, 0x3fb8aa3b, v31
	v_exp_f32_e32 v11, v4
	v_add_co_u32_e32 v4, vcc, s14, v20
	v_addc_co_u32_e32 v5, vcc, v3, v21, vcc
	global_store_dword v[4:5], v10, off
	v_add_u32_e32 v4, 0x31084, v2
	v_ashrrev_i32_e32 v5, 31, v4
	v_fma_f32 v14, -v23, v11, v22
	v_mul_f32_e64 v15, v23, -v11
	v_lshlrev_b64 v[10:11], 2, v[4:5]
	v_add_co_u32_e32 v4, vcc, s0, v10
	v_addc_co_u32_e32 v5, vcc, v1, v11, vcc
	global_load_dword v26, v[4:5], off
	s_waitcnt vmcnt(8)
	v_mul_f32_e32 v4, 0x3fb8aa3b, v33
	v_exp_f32_e32 v20, v4
	v_add_u32_e32 v4, 0x332a0, v2
	v_cmp_eq_u32_e32 vcc, 20, v0
	v_ashrrev_i32_e32 v5, 31, v4
	v_cndmask_b32_e32 v18, v15, v14, vcc
	v_lshlrev_b64 v[14:15], 2, v[4:5]
	v_add_co_u32_e32 v4, vcc, s0, v14
	v_addc_co_u32_e32 v5, vcc, v1, v15, vcc
	global_load_dword v27, v[4:5], off
	v_add_u32_e32 v4, 0x354bc, v2
	v_ashrrev_i32_e32 v5, 31, v4
	v_lshlrev_b64 v[16:17], 2, v[4:5]
	v_add_co_u32_e32 v4, vcc, s0, v16
	v_addc_co_u32_e32 v5, vcc, v1, v17, vcc
	global_load_dword v28, v[4:5], off
	v_add_co_u32_e32 v4, vcc, s14, v12
	v_addc_co_u32_e32 v5, vcc, v3, v13, vcc
	global_store_dword v[4:5], v18, off
	v_add_u32_e32 v4, 0x376d8, v2
	v_ashrrev_i32_e32 v5, 31, v4
	v_lshlrev_b64 v[18:19], 2, v[4:5]
	v_add_co_u32_e32 v4, vcc, s0, v18
	v_addc_co_u32_e32 v5, vcc, v1, v19, vcc
	v_fma_f32 v12, -v23, v20, v22
	global_load_dword v29, v[4:5], off
	v_mul_f32_e64 v4, v23, -v20
	v_cmp_eq_u32_e32 vcc, 21, v0
	v_cndmask_b32_e32 v25, v4, v12, vcc
	v_add_u32_e32 v4, 0x398f4, v2
	v_ashrrev_i32_e32 v5, 31, v4
	v_lshlrev_b64 v[20:21], 2, v[4:5]
	v_add_co_u32_e32 v4, vcc, s0, v20
	v_addc_co_u32_e32 v5, vcc, v1, v21, vcc
	global_load_dword v30, v[4:5], off
	s_waitcnt vmcnt(12)
	v_mul_f32_e32 v4, 0x3fb8aa3b, v24
	v_exp_f32_e32 v24, v4
	v_add_u32_e32 v4, 0x3bb10, v2
	v_ashrrev_i32_e32 v5, 31, v4
	v_lshlrev_b64 v[12:13], 2, v[4:5]
	v_add_co_u32_e32 v4, vcc, s0, v12
	v_addc_co_u32_e32 v5, vcc, v1, v13, vcc
	global_load_dword v31, v[4:5], off
	v_add_co_u32_e32 v4, vcc, s14, v8
	v_addc_co_u32_e32 v5, vcc, v3, v9, vcc
	global_store_dword v[4:5], v25, off
	v_fma_f32 v4, -v23, v24, v22
	v_mul_f32_e64 v5, v23, -v24
	v_cmp_eq_u32_e32 vcc, 22, v0
	v_cndmask_b32_e32 v32, v5, v4, vcc
	v_add_u32_e32 v4, 0x3dd2c, v2
	v_ashrrev_i32_e32 v5, 31, v4
	v_lshlrev_b64 v[8:9], 2, v[4:5]
	v_add_co_u32_e32 v4, vcc, s0, v8
	v_addc_co_u32_e32 v5, vcc, v1, v9, vcc
	global_load_dword v33, v[4:5], off
	v_add_u32_e32 v4, 0x3ff48, v2
	v_ashrrev_i32_e32 v5, 31, v4
	v_lshlrev_b64 v[4:5], 2, v[4:5]
	v_add_co_u32_e32 v24, vcc, s0, v4
	v_addc_co_u32_e32 v25, vcc, v1, v5, vcc
	global_load_dword v24, v[24:25], off
	s_waitcnt vmcnt(9)
	v_mul_f32_e32 v25, 0x3fb8aa3b, v26
	v_exp_f32_e32 v25, v25
	v_add_co_u32_e32 v6, vcc, s14, v6
	v_addc_co_u32_e32 v7, vcc, v3, v7, vcc
	global_store_dword v[6:7], v32, off
	v_fma_f32 v6, -v23, v25, v22
	v_mul_f32_e64 v7, v23, -v25
	v_cmp_eq_u32_e32 vcc, 23, v0
	v_cndmask_b32_e32 v25, v7, v6, vcc
	s_waitcnt vmcnt(9)
	v_mul_f32_e32 v6, 0x3fb8aa3b, v27
	v_exp_f32_e32 v26, v6
	v_add_co_u32_e32 v6, vcc, s14, v10
	v_addc_co_u32_e32 v7, vcc, v3, v11, vcc
	global_store_dword v[6:7], v25, off
	v_fma_f32 v6, -v23, v26, v22
	v_mul_f32_e64 v7, v23, -v26
	v_cmp_eq_u32_e32 vcc, 24, v0
	v_cndmask_b32_e32 v10, v7, v6, vcc
	;; [unrolled: 10-line block ×5, first 2 shown]
	s_waitcnt vmcnt(8)
	v_mul_f32_e32 v6, 0x3fb8aa3b, v31
	v_exp_f32_e32 v11, v6
	v_add_co_u32_e32 v6, vcc, s14, v20
	v_addc_co_u32_e32 v7, vcc, v3, v21, vcc
	global_store_dword v[6:7], v10, off
	v_add_u32_e32 v6, 0x42164, v2
	v_ashrrev_i32_e32 v7, 31, v6
	v_fma_f32 v14, -v23, v11, v22
	v_mul_f32_e64 v15, v23, -v11
	v_lshlrev_b64 v[10:11], 2, v[6:7]
	v_add_co_u32_e32 v6, vcc, s0, v10
	v_addc_co_u32_e32 v7, vcc, v1, v11, vcc
	global_load_dword v26, v[6:7], off
	s_waitcnt vmcnt(8)
	v_mul_f32_e32 v6, 0x3fb8aa3b, v33
	v_exp_f32_e32 v20, v6
	v_add_u32_e32 v6, 0x44380, v2
	v_cmp_eq_u32_e32 vcc, 28, v0
	v_ashrrev_i32_e32 v7, 31, v6
	v_cndmask_b32_e32 v18, v15, v14, vcc
	v_lshlrev_b64 v[14:15], 2, v[6:7]
	v_add_co_u32_e32 v6, vcc, s0, v14
	v_addc_co_u32_e32 v7, vcc, v1, v15, vcc
	global_load_dword v27, v[6:7], off
	v_add_u32_e32 v6, 0x4659c, v2
	v_ashrrev_i32_e32 v7, 31, v6
	v_lshlrev_b64 v[16:17], 2, v[6:7]
	v_add_co_u32_e32 v6, vcc, s0, v16
	v_addc_co_u32_e32 v7, vcc, v1, v17, vcc
	global_load_dword v28, v[6:7], off
	v_add_co_u32_e32 v6, vcc, s14, v12
	v_addc_co_u32_e32 v7, vcc, v3, v13, vcc
	global_store_dword v[6:7], v18, off
	v_add_u32_e32 v6, 0x487b8, v2
	v_ashrrev_i32_e32 v7, 31, v6
	v_lshlrev_b64 v[18:19], 2, v[6:7]
	v_add_co_u32_e32 v6, vcc, s0, v18
	v_addc_co_u32_e32 v7, vcc, v1, v19, vcc
	v_fma_f32 v12, -v23, v20, v22
	global_load_dword v29, v[6:7], off
	v_mul_f32_e64 v6, v23, -v20
	v_cmp_eq_u32_e32 vcc, 29, v0
	v_cndmask_b32_e32 v25, v6, v12, vcc
	v_add_u32_e32 v6, 0x4a9d4, v2
	v_ashrrev_i32_e32 v7, 31, v6
	v_lshlrev_b64 v[20:21], 2, v[6:7]
	v_add_co_u32_e32 v6, vcc, s0, v20
	v_addc_co_u32_e32 v7, vcc, v1, v21, vcc
	global_load_dword v30, v[6:7], off
	s_waitcnt vmcnt(12)
	v_mul_f32_e32 v6, 0x3fb8aa3b, v24
	v_exp_f32_e32 v24, v6
	v_add_u32_e32 v6, 0x4cbf0, v2
	v_ashrrev_i32_e32 v7, 31, v6
	v_lshlrev_b64 v[12:13], 2, v[6:7]
	v_add_co_u32_e32 v6, vcc, s0, v12
	v_addc_co_u32_e32 v7, vcc, v1, v13, vcc
	global_load_dword v31, v[6:7], off
	v_add_co_u32_e32 v6, vcc, s14, v8
	v_addc_co_u32_e32 v7, vcc, v3, v9, vcc
	global_store_dword v[6:7], v25, off
	v_fma_f32 v6, -v23, v24, v22
	v_mul_f32_e64 v7, v23, -v24
	v_cmp_eq_u32_e32 vcc, 30, v0
	v_cndmask_b32_e32 v32, v7, v6, vcc
	v_add_u32_e32 v6, 0x4ee0c, v2
	v_ashrrev_i32_e32 v7, 31, v6
	v_lshlrev_b64 v[8:9], 2, v[6:7]
	v_add_co_u32_e32 v6, vcc, s0, v8
	v_addc_co_u32_e32 v7, vcc, v1, v9, vcc
	global_load_dword v33, v[6:7], off
	v_add_u32_e32 v6, 0x51028, v2
	v_ashrrev_i32_e32 v7, 31, v6
	v_lshlrev_b64 v[6:7], 2, v[6:7]
	v_add_co_u32_e32 v24, vcc, s0, v6
	v_addc_co_u32_e32 v25, vcc, v1, v7, vcc
	global_load_dword v24, v[24:25], off
	s_waitcnt vmcnt(9)
	v_mul_f32_e32 v25, 0x3fb8aa3b, v26
	v_exp_f32_e32 v25, v25
	v_add_co_u32_e32 v4, vcc, s14, v4
	v_addc_co_u32_e32 v5, vcc, v3, v5, vcc
	global_store_dword v[4:5], v32, off
	v_fma_f32 v4, -v23, v25, v22
	v_mul_f32_e64 v5, v23, -v25
	v_cmp_eq_u32_e32 vcc, 31, v0
	v_cndmask_b32_e32 v25, v5, v4, vcc
	s_waitcnt vmcnt(9)
	v_mul_f32_e32 v4, 0x3fb8aa3b, v27
	v_exp_f32_e32 v26, v4
	v_add_co_u32_e32 v4, vcc, s14, v10
	v_addc_co_u32_e32 v5, vcc, v3, v11, vcc
	global_store_dword v[4:5], v25, off
	v_fma_f32 v4, -v23, v26, v22
	v_mul_f32_e64 v5, v23, -v26
	v_cmp_eq_u32_e32 vcc, 32, v0
	v_cndmask_b32_e32 v10, v5, v4, vcc
	;; [unrolled: 10-line block ×5, first 2 shown]
	s_waitcnt vmcnt(8)
	v_mul_f32_e32 v4, 0x3fb8aa3b, v31
	v_exp_f32_e32 v11, v4
	v_add_co_u32_e32 v4, vcc, s14, v20
	v_addc_co_u32_e32 v5, vcc, v3, v21, vcc
	global_store_dword v[4:5], v10, off
	v_add_u32_e32 v4, 0x53244, v2
	v_ashrrev_i32_e32 v5, 31, v4
	v_fma_f32 v14, -v23, v11, v22
	v_mul_f32_e64 v15, v23, -v11
	v_lshlrev_b64 v[10:11], 2, v[4:5]
	v_add_co_u32_e32 v4, vcc, s0, v10
	v_addc_co_u32_e32 v5, vcc, v1, v11, vcc
	global_load_dword v26, v[4:5], off
	s_waitcnt vmcnt(8)
	v_mul_f32_e32 v4, 0x3fb8aa3b, v33
	v_exp_f32_e32 v20, v4
	v_add_u32_e32 v4, 0x55460, v2
	v_cmp_eq_u32_e32 vcc, 36, v0
	v_ashrrev_i32_e32 v5, 31, v4
	v_cndmask_b32_e32 v18, v15, v14, vcc
	v_lshlrev_b64 v[14:15], 2, v[4:5]
	v_add_co_u32_e32 v4, vcc, s0, v14
	v_addc_co_u32_e32 v5, vcc, v1, v15, vcc
	global_load_dword v27, v[4:5], off
	v_add_u32_e32 v4, 0x5767c, v2
	v_ashrrev_i32_e32 v5, 31, v4
	v_lshlrev_b64 v[16:17], 2, v[4:5]
	v_add_co_u32_e32 v4, vcc, s0, v16
	v_addc_co_u32_e32 v5, vcc, v1, v17, vcc
	global_load_dword v28, v[4:5], off
	v_add_co_u32_e32 v4, vcc, s14, v12
	v_addc_co_u32_e32 v5, vcc, v3, v13, vcc
	global_store_dword v[4:5], v18, off
	v_add_u32_e32 v4, 0x59898, v2
	v_ashrrev_i32_e32 v5, 31, v4
	v_lshlrev_b64 v[18:19], 2, v[4:5]
	v_add_co_u32_e32 v4, vcc, s0, v18
	v_addc_co_u32_e32 v5, vcc, v1, v19, vcc
	v_fma_f32 v12, -v23, v20, v22
	global_load_dword v29, v[4:5], off
	v_mul_f32_e64 v4, v23, -v20
	v_cmp_eq_u32_e32 vcc, 37, v0
	v_cndmask_b32_e32 v25, v4, v12, vcc
	v_add_u32_e32 v4, 0x5bab4, v2
	v_ashrrev_i32_e32 v5, 31, v4
	v_lshlrev_b64 v[20:21], 2, v[4:5]
	v_add_co_u32_e32 v4, vcc, s0, v20
	v_addc_co_u32_e32 v5, vcc, v1, v21, vcc
	global_load_dword v30, v[4:5], off
	s_waitcnt vmcnt(12)
	v_mul_f32_e32 v4, 0x3fb8aa3b, v24
	v_exp_f32_e32 v24, v4
	v_add_u32_e32 v4, 0x5dcd0, v2
	v_ashrrev_i32_e32 v5, 31, v4
	v_lshlrev_b64 v[12:13], 2, v[4:5]
	v_add_co_u32_e32 v4, vcc, s0, v12
	v_addc_co_u32_e32 v5, vcc, v1, v13, vcc
	global_load_dword v31, v[4:5], off
	v_add_co_u32_e32 v4, vcc, s14, v8
	v_addc_co_u32_e32 v5, vcc, v3, v9, vcc
	global_store_dword v[4:5], v25, off
	v_fma_f32 v4, -v23, v24, v22
	v_mul_f32_e64 v5, v23, -v24
	v_cmp_eq_u32_e32 vcc, 38, v0
	v_cndmask_b32_e32 v32, v5, v4, vcc
	v_add_u32_e32 v4, 0x5feec, v2
	v_ashrrev_i32_e32 v5, 31, v4
	v_lshlrev_b64 v[8:9], 2, v[4:5]
	v_add_co_u32_e32 v4, vcc, s0, v8
	v_addc_co_u32_e32 v5, vcc, v1, v9, vcc
	global_load_dword v33, v[4:5], off
	v_add_u32_e32 v4, 0x62108, v2
	v_ashrrev_i32_e32 v5, 31, v4
	v_lshlrev_b64 v[4:5], 2, v[4:5]
	v_add_co_u32_e32 v24, vcc, s0, v4
	v_addc_co_u32_e32 v25, vcc, v1, v5, vcc
	global_load_dword v24, v[24:25], off
	s_waitcnt vmcnt(9)
	v_mul_f32_e32 v25, 0x3fb8aa3b, v26
	v_exp_f32_e32 v25, v25
	v_add_co_u32_e32 v6, vcc, s14, v6
	v_addc_co_u32_e32 v7, vcc, v3, v7, vcc
	global_store_dword v[6:7], v32, off
	v_fma_f32 v6, -v23, v25, v22
	v_mul_f32_e64 v7, v23, -v25
	v_cmp_eq_u32_e32 vcc, 39, v0
	v_cndmask_b32_e32 v25, v7, v6, vcc
	s_waitcnt vmcnt(9)
	v_mul_f32_e32 v6, 0x3fb8aa3b, v27
	v_exp_f32_e32 v26, v6
	v_add_co_u32_e32 v6, vcc, s14, v10
	v_addc_co_u32_e32 v7, vcc, v3, v11, vcc
	global_store_dword v[6:7], v25, off
	v_fma_f32 v6, -v23, v26, v22
	v_mul_f32_e64 v7, v23, -v26
	v_cmp_eq_u32_e32 vcc, 40, v0
	v_cndmask_b32_e32 v10, v7, v6, vcc
	;; [unrolled: 10-line block ×5, first 2 shown]
	s_waitcnt vmcnt(8)
	v_mul_f32_e32 v6, 0x3fb8aa3b, v31
	v_exp_f32_e32 v11, v6
	v_add_co_u32_e32 v6, vcc, s14, v20
	v_addc_co_u32_e32 v7, vcc, v3, v21, vcc
	global_store_dword v[6:7], v10, off
	v_add_u32_e32 v6, 0x64324, v2
	v_ashrrev_i32_e32 v7, 31, v6
	v_fma_f32 v14, -v23, v11, v22
	v_mul_f32_e64 v15, v23, -v11
	v_lshlrev_b64 v[10:11], 2, v[6:7]
	v_add_co_u32_e32 v6, vcc, s0, v10
	v_addc_co_u32_e32 v7, vcc, v1, v11, vcc
	global_load_dword v26, v[6:7], off
	s_waitcnt vmcnt(8)
	v_mul_f32_e32 v6, 0x3fb8aa3b, v33
	v_exp_f32_e32 v20, v6
	v_add_u32_e32 v6, 0x66540, v2
	v_cmp_eq_u32_e32 vcc, 44, v0
	v_ashrrev_i32_e32 v7, 31, v6
	v_cndmask_b32_e32 v18, v15, v14, vcc
	v_lshlrev_b64 v[14:15], 2, v[6:7]
	v_add_co_u32_e32 v6, vcc, s0, v14
	v_addc_co_u32_e32 v7, vcc, v1, v15, vcc
	global_load_dword v27, v[6:7], off
	v_add_u32_e32 v6, 0x6875c, v2
	v_ashrrev_i32_e32 v7, 31, v6
	v_lshlrev_b64 v[16:17], 2, v[6:7]
	v_add_co_u32_e32 v6, vcc, s0, v16
	v_addc_co_u32_e32 v7, vcc, v1, v17, vcc
	global_load_dword v28, v[6:7], off
	v_add_co_u32_e32 v6, vcc, s14, v12
	v_addc_co_u32_e32 v7, vcc, v3, v13, vcc
	global_store_dword v[6:7], v18, off
	v_add_u32_e32 v6, 0x6a978, v2
	v_ashrrev_i32_e32 v7, 31, v6
	v_lshlrev_b64 v[18:19], 2, v[6:7]
	v_add_co_u32_e32 v6, vcc, s0, v18
	v_addc_co_u32_e32 v7, vcc, v1, v19, vcc
	v_fma_f32 v12, -v23, v20, v22
	global_load_dword v29, v[6:7], off
	v_mul_f32_e64 v6, v23, -v20
	v_cmp_eq_u32_e32 vcc, 45, v0
	v_cndmask_b32_e32 v25, v6, v12, vcc
	v_add_u32_e32 v6, 0x6cb94, v2
	v_ashrrev_i32_e32 v7, 31, v6
	v_lshlrev_b64 v[20:21], 2, v[6:7]
	v_add_co_u32_e32 v6, vcc, s0, v20
	v_addc_co_u32_e32 v7, vcc, v1, v21, vcc
	global_load_dword v30, v[6:7], off
	s_waitcnt vmcnt(12)
	v_mul_f32_e32 v6, 0x3fb8aa3b, v24
	v_exp_f32_e32 v24, v6
	v_add_u32_e32 v6, 0x6edb0, v2
	v_ashrrev_i32_e32 v7, 31, v6
	v_lshlrev_b64 v[12:13], 2, v[6:7]
	v_add_co_u32_e32 v6, vcc, s0, v12
	v_addc_co_u32_e32 v7, vcc, v1, v13, vcc
	global_load_dword v31, v[6:7], off
	v_add_co_u32_e32 v6, vcc, s14, v8
	v_addc_co_u32_e32 v7, vcc, v3, v9, vcc
	global_store_dword v[6:7], v25, off
	v_fma_f32 v6, -v23, v24, v22
	v_mul_f32_e64 v7, v23, -v24
	v_cmp_eq_u32_e32 vcc, 46, v0
	v_cndmask_b32_e32 v32, v7, v6, vcc
	v_add_u32_e32 v6, 0x70fcc, v2
	v_ashrrev_i32_e32 v7, 31, v6
	v_lshlrev_b64 v[6:7], 2, v[6:7]
	v_add_co_u32_e32 v8, vcc, s0, v6
	v_addc_co_u32_e32 v9, vcc, v1, v7, vcc
	global_load_dword v33, v[8:9], off
	v_add_u32_e32 v8, 0x731e8, v2
	v_ashrrev_i32_e32 v9, 31, v8
	v_lshlrev_b64 v[8:9], 2, v[8:9]
	v_add_co_u32_e32 v24, vcc, s0, v8
	v_addc_co_u32_e32 v25, vcc, v1, v9, vcc
	global_load_dword v24, v[24:25], off
	s_waitcnt vmcnt(9)
	v_mul_f32_e32 v25, 0x3fb8aa3b, v26
	v_exp_f32_e32 v25, v25
	v_add_co_u32_e32 v4, vcc, s14, v4
	v_addc_co_u32_e32 v5, vcc, v3, v5, vcc
	global_store_dword v[4:5], v32, off
	v_fma_f32 v4, -v23, v25, v22
	v_mul_f32_e64 v5, v23, -v25
	v_cmp_eq_u32_e32 vcc, 47, v0
	v_cndmask_b32_e32 v25, v5, v4, vcc
	s_waitcnt vmcnt(9)
	v_mul_f32_e32 v4, 0x3fb8aa3b, v27
	v_exp_f32_e32 v26, v4
	v_add_co_u32_e32 v4, vcc, s14, v10
	v_addc_co_u32_e32 v5, vcc, v3, v11, vcc
	global_store_dword v[4:5], v25, off
	v_fma_f32 v4, -v23, v26, v22
	v_mul_f32_e64 v5, v23, -v26
	v_cmp_eq_u32_e32 vcc, 48, v0
	v_cndmask_b32_e32 v10, v5, v4, vcc
	;; [unrolled: 10-line block ×5, first 2 shown]
	s_waitcnt vmcnt(8)
	v_mul_f32_e32 v4, 0x3fb8aa3b, v31
	v_exp_f32_e32 v11, v4
	v_add_co_u32_e32 v4, vcc, s14, v20
	v_addc_co_u32_e32 v5, vcc, v3, v21, vcc
	global_store_dword v[4:5], v10, off
	v_add_u32_e32 v4, 0x75404, v2
	v_ashrrev_i32_e32 v5, 31, v4
	v_fma_f32 v14, -v23, v11, v22
	v_mul_f32_e64 v15, v23, -v11
	v_lshlrev_b64 v[10:11], 2, v[4:5]
	v_add_co_u32_e32 v4, vcc, s0, v10
	v_addc_co_u32_e32 v5, vcc, v1, v11, vcc
	global_load_dword v26, v[4:5], off
	s_waitcnt vmcnt(8)
	v_mul_f32_e32 v4, 0x3fb8aa3b, v33
	v_exp_f32_e32 v20, v4
	v_add_u32_e32 v4, 0x77620, v2
	v_cmp_eq_u32_e32 vcc, 52, v0
	v_ashrrev_i32_e32 v5, 31, v4
	v_cndmask_b32_e32 v18, v15, v14, vcc
	v_lshlrev_b64 v[14:15], 2, v[4:5]
	v_add_co_u32_e32 v4, vcc, s0, v14
	v_addc_co_u32_e32 v5, vcc, v1, v15, vcc
	global_load_dword v27, v[4:5], off
	v_add_u32_e32 v4, 0x7983c, v2
	v_ashrrev_i32_e32 v5, 31, v4
	v_lshlrev_b64 v[16:17], 2, v[4:5]
	v_add_co_u32_e32 v4, vcc, s0, v16
	v_addc_co_u32_e32 v5, vcc, v1, v17, vcc
	global_load_dword v28, v[4:5], off
	v_add_co_u32_e32 v4, vcc, s14, v12
	v_addc_co_u32_e32 v5, vcc, v3, v13, vcc
	global_store_dword v[4:5], v18, off
	v_add_u32_e32 v4, 0x7ba58, v2
	v_ashrrev_i32_e32 v5, 31, v4
	v_lshlrev_b64 v[18:19], 2, v[4:5]
	v_add_co_u32_e32 v4, vcc, s0, v18
	v_addc_co_u32_e32 v5, vcc, v1, v19, vcc
	v_fma_f32 v12, -v23, v20, v22
	global_load_dword v29, v[4:5], off
	v_mul_f32_e64 v4, v23, -v20
	v_cmp_eq_u32_e32 vcc, 53, v0
	v_cndmask_b32_e32 v25, v4, v12, vcc
	v_add_u32_e32 v4, 0x7dc74, v2
	v_ashrrev_i32_e32 v5, 31, v4
	v_lshlrev_b64 v[20:21], 2, v[4:5]
	v_add_co_u32_e32 v4, vcc, s0, v20
	v_addc_co_u32_e32 v5, vcc, v1, v21, vcc
	global_load_dword v30, v[4:5], off
	s_waitcnt vmcnt(12)
	v_mul_f32_e32 v4, 0x3fb8aa3b, v24
	v_exp_f32_e32 v24, v4
	v_add_u32_e32 v4, 0x7fe90, v2
	v_ashrrev_i32_e32 v5, 31, v4
	v_lshlrev_b64 v[12:13], 2, v[4:5]
	v_add_co_u32_e32 v4, vcc, s0, v12
	v_addc_co_u32_e32 v5, vcc, v1, v13, vcc
	global_load_dword v31, v[4:5], off
	v_add_co_u32_e32 v4, vcc, s14, v6
	v_addc_co_u32_e32 v5, vcc, v3, v7, vcc
	global_store_dword v[4:5], v25, off
	v_fma_f32 v4, -v23, v24, v22
	v_mul_f32_e64 v5, v23, -v24
	v_cmp_eq_u32_e32 vcc, 54, v0
	v_cndmask_b32_e32 v32, v5, v4, vcc
	v_add_u32_e32 v4, 0x820ac, v2
	v_ashrrev_i32_e32 v5, 31, v4
	v_lshlrev_b64 v[4:5], 2, v[4:5]
	v_add_co_u32_e32 v6, vcc, s0, v4
	v_addc_co_u32_e32 v7, vcc, v1, v5, vcc
	global_load_dword v33, v[6:7], off
	v_add_u32_e32 v6, 0x842c8, v2
	v_ashrrev_i32_e32 v7, 31, v6
	v_lshlrev_b64 v[6:7], 2, v[6:7]
	v_add_co_u32_e32 v24, vcc, s0, v6
	v_addc_co_u32_e32 v25, vcc, v1, v7, vcc
	global_load_dword v24, v[24:25], off
	s_waitcnt vmcnt(9)
	v_mul_f32_e32 v25, 0x3fb8aa3b, v26
	v_exp_f32_e32 v25, v25
	v_add_co_u32_e32 v8, vcc, s14, v8
	v_addc_co_u32_e32 v9, vcc, v3, v9, vcc
	global_store_dword v[8:9], v32, off
	v_fma_f32 v8, -v23, v25, v22
	v_mul_f32_e64 v9, v23, -v25
	v_cmp_eq_u32_e32 vcc, 55, v0
	v_cndmask_b32_e32 v25, v9, v8, vcc
	s_waitcnt vmcnt(9)
	v_mul_f32_e32 v8, 0x3fb8aa3b, v27
	v_exp_f32_e32 v26, v8
	v_add_co_u32_e32 v8, vcc, s14, v10
	v_addc_co_u32_e32 v9, vcc, v3, v11, vcc
	global_store_dword v[8:9], v25, off
	v_fma_f32 v8, -v23, v26, v22
	v_mul_f32_e64 v9, v23, -v26
	v_cmp_eq_u32_e32 vcc, 56, v0
	v_cndmask_b32_e32 v10, v9, v8, vcc
	;; [unrolled: 10-line block ×5, first 2 shown]
	s_waitcnt vmcnt(8)
	v_mul_f32_e32 v8, 0x3fb8aa3b, v31
	v_exp_f32_e32 v11, v8
	v_add_co_u32_e32 v8, vcc, s14, v20
	v_addc_co_u32_e32 v9, vcc, v3, v21, vcc
	global_store_dword v[8:9], v10, off
	v_add_u32_e32 v8, 0x864e4, v2
	v_ashrrev_i32_e32 v9, 31, v8
	v_lshlrev_b64 v[8:9], 2, v[8:9]
	v_add_co_u32_e32 v10, vcc, s0, v8
	v_fma_f32 v14, -v23, v11, v22
	v_mul_f32_e64 v15, v23, -v11
	v_addc_co_u32_e32 v11, vcc, v1, v9, vcc
	global_load_dword v26, v[10:11], off
	s_waitcnt vmcnt(8)
	v_mul_f32_e32 v10, 0x3fb8aa3b, v33
	v_exp_f32_e32 v19, v10
	v_add_u32_e32 v10, 0x88700, v2
	v_ashrrev_i32_e32 v11, 31, v10
	v_cmp_eq_u32_e32 vcc, 60, v0
	v_lshlrev_b64 v[10:11], 2, v[10:11]
	v_cndmask_b32_e32 v18, v15, v14, vcc
	v_add_co_u32_e32 v14, vcc, s0, v10
	v_addc_co_u32_e32 v15, vcc, v1, v11, vcc
	global_load_dword v27, v[14:15], off
	v_add_u32_e32 v14, 0x8a91c, v2
	v_ashrrev_i32_e32 v15, 31, v14
	v_lshlrev_b64 v[14:15], 2, v[14:15]
	v_add_co_u32_e32 v16, vcc, s0, v14
	v_addc_co_u32_e32 v17, vcc, v1, v15, vcc
	v_add_co_u32_e32 v12, vcc, s14, v12
	global_load_dword v28, v[16:17], off
	v_addc_co_u32_e32 v13, vcc, v3, v13, vcc
	global_store_dword v[12:13], v18, off
	v_add_u32_e32 v12, 0x8cb38, v2
	v_ashrrev_i32_e32 v13, 31, v12
	v_fma_f32 v16, -v23, v19, v22
	v_mul_f32_e64 v17, v23, -v19
	v_lshlrev_b64 v[18:19], 2, v[12:13]
	v_add_co_u32_e32 v12, vcc, s0, v18
	v_addc_co_u32_e32 v13, vcc, v1, v19, vcc
	global_load_dword v29, v[12:13], off
	v_add_u32_e32 v12, 0x8ed54, v2
	v_ashrrev_i32_e32 v13, 31, v12
	v_cmp_eq_u32_e32 vcc, 61, v0
	v_lshlrev_b64 v[20:21], 2, v[12:13]
	v_cndmask_b32_e32 v25, v17, v16, vcc
	v_add_co_u32_e32 v12, vcc, s0, v20
	v_addc_co_u32_e32 v13, vcc, v1, v21, vcc
	global_load_dword v30, v[12:13], off
	s_waitcnt vmcnt(12)
	v_mul_f32_e32 v12, 0x3fb8aa3b, v24
	v_exp_f32_e32 v24, v12
	v_add_u32_e32 v12, 0x90f70, v2
	v_add_co_u32_e32 v4, vcc, s14, v4
	v_ashrrev_i32_e32 v13, 31, v12
	v_addc_co_u32_e32 v5, vcc, v3, v5, vcc
	v_lshlrev_b64 v[16:17], 2, v[12:13]
	v_add_co_u32_e32 v12, vcc, s0, v16
	v_addc_co_u32_e32 v13, vcc, v1, v17, vcc
	global_load_dword v31, v[12:13], off
	s_nop 0
	global_store_dword v[4:5], v25, off
	v_add_u32_e32 v4, 0x9318c, v2
	v_ashrrev_i32_e32 v5, 31, v4
	v_lshlrev_b64 v[12:13], 2, v[4:5]
	v_add_co_u32_e32 v4, vcc, s0, v12
	v_addc_co_u32_e32 v5, vcc, v1, v13, vcc
	global_load_dword v32, v[4:5], off
	v_add_u32_e32 v4, 0x953a8, v2
	v_ashrrev_i32_e32 v5, 31, v4
	v_fma_f32 v25, -v23, v24, v22
	v_mul_f32_e64 v24, v23, -v24
	v_cmp_eq_u32_e32 vcc, 62, v0
	v_lshlrev_b64 v[4:5], 2, v[4:5]
	v_cndmask_b32_e32 v33, v24, v25, vcc
	v_add_co_u32_e32 v24, vcc, s0, v4
	v_addc_co_u32_e32 v25, vcc, v1, v5, vcc
	global_load_dword v24, v[24:25], off
	s_waitcnt vmcnt(9)
	v_mul_f32_e32 v25, 0x3fb8aa3b, v26
	v_exp_f32_e32 v25, v25
	v_add_co_u32_e32 v6, vcc, s14, v6
	v_addc_co_u32_e32 v7, vcc, v3, v7, vcc
	global_store_dword v[6:7], v33, off
	v_fma_f32 v6, -v23, v25, v22
	v_mul_f32_e64 v7, v23, -v25
	v_cmp_eq_u32_e32 vcc, 63, v0
	v_cndmask_b32_e32 v25, v7, v6, vcc
	s_waitcnt vmcnt(9)
	v_mul_f32_e32 v6, 0x3fb8aa3b, v27
	v_exp_f32_e32 v26, v6
	v_add_co_u32_e32 v6, vcc, s14, v8
	v_addc_co_u32_e32 v7, vcc, v3, v9, vcc
	global_store_dword v[6:7], v25, off
	v_fma_f32 v6, -v23, v26, v22
	v_mul_f32_e64 v7, v23, -v26
	v_cmp_eq_u32_e32 vcc, 64, v0
	v_cndmask_b32_e32 v8, v7, v6, vcc
	;; [unrolled: 10-line block ×3, first 2 shown]
	s_waitcnt vmcnt(8)
	v_mul_f32_e32 v6, 0x3fb8aa3b, v29
	v_exp_f32_e32 v9, v6
	v_add_co_u32_e32 v6, vcc, s14, v14
	v_addc_co_u32_e32 v7, vcc, v3, v15, vcc
	s_movk_i32 s1, 0x42
	global_store_dword v[6:7], v8, off
	v_fma_f32 v6, -v23, v9, v22
	v_mul_f32_e64 v7, v23, -v9
	v_cmp_eq_u32_e32 vcc, s1, v0
	v_cndmask_b32_e32 v8, v7, v6, vcc
	s_waitcnt vmcnt(8)
	v_mul_f32_e32 v6, 0x3fb8aa3b, v30
	v_exp_f32_e32 v9, v6
	v_add_co_u32_e32 v6, vcc, s14, v18
	v_addc_co_u32_e32 v7, vcc, v3, v19, vcc
	s_movk_i32 s1, 0x43
	global_store_dword v[6:7], v8, off
	v_fma_f32 v6, -v23, v9, v22
	v_mul_f32_e64 v7, v23, -v9
	v_cmp_eq_u32_e32 vcc, s1, v0
	v_cndmask_b32_e32 v8, v7, v6, vcc
	;; [unrolled: 11-line block ×3, first 2 shown]
	v_add_u32_e32 v6, 0x975c4, v2
	v_ashrrev_i32_e32 v7, 31, v6
	v_lshlrev_b64 v[10:11], 2, v[6:7]
	v_add_co_u32_e32 v6, vcc, s0, v10
	v_addc_co_u32_e32 v7, vcc, v1, v11, vcc
	global_load_dword v28, v[6:7], off
	v_add_u32_e32 v6, 0x997e0, v2
	v_ashrrev_i32_e32 v7, 31, v6
	s_waitcnt vmcnt(8)
	v_mul_f32_e32 v8, 0x3fb8aa3b, v32
	v_lshlrev_b64 v[6:7], 2, v[6:7]
	v_exp_f32_e32 v18, v8
	v_add_co_u32_e32 v8, vcc, s0, v6
	v_addc_co_u32_e32 v9, vcc, v1, v7, vcc
	global_load_dword v29, v[8:9], off
	v_add_co_u32_e32 v8, vcc, s14, v16
	v_addc_co_u32_e32 v9, vcc, v3, v17, vcc
	global_store_dword v[8:9], v14, off
	v_add_u32_e32 v8, 0x9b9fc, v2
	v_ashrrev_i32_e32 v9, 31, v8
	v_lshlrev_b64 v[8:9], 2, v[8:9]
	v_add_co_u32_e32 v14, vcc, s0, v8
	v_addc_co_u32_e32 v15, vcc, v1, v9, vcc
	global_load_dword v30, v[14:15], off
	s_waitcnt vmcnt(10)
	v_mul_f32_e32 v15, 0x3fb8aa3b, v24
	s_movk_i32 s1, 0x45
	v_exp_f32_e32 v15, v15
	v_fma_f32 v16, -v23, v18, v22
	v_mul_f32_e64 v14, v23, -v18
	v_cmp_eq_u32_e32 vcc, s1, v0
	v_cndmask_b32_e32 v14, v14, v16, vcc
	v_add_co_u32_e32 v12, vcc, s14, v12
	v_addc_co_u32_e32 v13, vcc, v3, v13, vcc
	s_movk_i32 s1, 0x46
	global_store_dword v[12:13], v14, off
	v_fma_f32 v12, -v23, v15, v22
	v_mul_f32_e64 v13, v23, -v15
	v_cmp_eq_u32_e32 vcc, s1, v0
	v_cndmask_b32_e32 v31, v13, v12, vcc
	v_add_u32_e32 v12, 0x9dc18, v2
	v_ashrrev_i32_e32 v13, 31, v12
	v_lshlrev_b64 v[12:13], 2, v[12:13]
	v_add_co_u32_e32 v14, vcc, s0, v12
	v_addc_co_u32_e32 v15, vcc, v1, v13, vcc
	global_load_dword v32, v[14:15], off
	v_add_u32_e32 v14, 0x9fe34, v2
	v_ashrrev_i32_e32 v15, 31, v14
	v_lshlrev_b64 v[14:15], 2, v[14:15]
	v_add_u32_e32 v16, 0xa2050, v2
	v_add_co_u32_e32 v18, vcc, s0, v14
	v_ashrrev_i32_e32 v17, 31, v16
	v_addc_co_u32_e32 v19, vcc, v1, v15, vcc
	v_lshlrev_b64 v[16:17], 2, v[16:17]
	v_add_co_u32_e32 v20, vcc, s0, v16
	v_addc_co_u32_e32 v21, vcc, v1, v17, vcc
	global_load_dword v33, v[18:19], off
	global_load_dword v34, v[20:21], off
	v_add_u32_e32 v18, 0xa426c, v2
	v_ashrrev_i32_e32 v19, 31, v18
	v_lshlrev_b64 v[18:19], 2, v[18:19]
	v_add_u32_e32 v20, 0xa6488, v2
	v_add_co_u32_e32 v24, vcc, s0, v18
	v_ashrrev_i32_e32 v21, 31, v20
	v_addc_co_u32_e32 v25, vcc, v1, v19, vcc
	v_lshlrev_b64 v[20:21], 2, v[20:21]
	v_add_co_u32_e32 v26, vcc, s0, v20
	v_addc_co_u32_e32 v27, vcc, v1, v21, vcc
	global_load_dword v35, v[24:25], off
	global_load_dword v36, v[26:27], off
	v_add_co_u32_e32 v4, vcc, s14, v4
	s_waitcnt vmcnt(9)
	v_mul_f32_e32 v24, 0x3fb8aa3b, v28
	v_exp_f32_e32 v24, v24
	v_addc_co_u32_e32 v5, vcc, v3, v5, vcc
	s_movk_i32 s1, 0x47
	global_store_dword v[4:5], v31, off
	v_fma_f32 v4, -v23, v24, v22
	v_mul_f32_e64 v5, v23, -v24
	v_cmp_eq_u32_e32 vcc, s1, v0
	v_cndmask_b32_e32 v24, v5, v4, vcc
	s_waitcnt vmcnt(9)
	v_mul_f32_e32 v4, 0x3fb8aa3b, v29
	v_exp_f32_e32 v25, v4
	v_add_co_u32_e32 v4, vcc, s14, v10
	v_addc_co_u32_e32 v5, vcc, v3, v11, vcc
	s_movk_i32 s1, 0x48
	global_store_dword v[4:5], v24, off
	v_fma_f32 v4, -v23, v25, v22
	v_mul_f32_e64 v5, v23, -v25
	v_cmp_eq_u32_e32 vcc, s1, v0
	v_cndmask_b32_e32 v26, v5, v4, vcc
	v_add_u32_e32 v4, 0xa86a4, v2
	v_ashrrev_i32_e32 v5, 31, v4
	v_lshlrev_b64 v[4:5], 2, v[4:5]
	v_add_co_u32_e32 v10, vcc, s0, v4
	v_addc_co_u32_e32 v11, vcc, v1, v5, vcc
	global_load_dword v27, v[10:11], off
	v_add_u32_e32 v10, 0xaa8c0, v2
	v_ashrrev_i32_e32 v11, 31, v10
	s_waitcnt vmcnt(9)
	v_mul_f32_e32 v24, 0x3fb8aa3b, v30
	v_lshlrev_b64 v[10:11], 2, v[10:11]
	v_exp_f32_e32 v28, v24
	v_add_co_u32_e32 v24, vcc, s0, v10
	v_addc_co_u32_e32 v25, vcc, v1, v11, vcc
	global_load_dword v1, v[24:25], off
	v_add_co_u32_e32 v6, vcc, s14, v6
	v_addc_co_u32_e32 v7, vcc, v3, v7, vcc
	s_movk_i32 s0, 0x49
	global_store_dword v[6:7], v26, off
	v_fma_f32 v2, -v23, v28, v22
	v_mul_f32_e64 v6, v23, -v28
	v_cmp_eq_u32_e32 vcc, s0, v0
	v_cndmask_b32_e32 v2, v6, v2, vcc
	s_waitcnt vmcnt(9)
	v_mul_f32_e32 v6, 0x3fb8aa3b, v32
	v_exp_f32_e32 v24, v6
	v_add_co_u32_e32 v6, vcc, s14, v8
	v_addc_co_u32_e32 v7, vcc, v3, v9, vcc
	s_movk_i32 s0, 0x4a
	global_store_dword v[6:7], v2, off
	v_fma_f32 v2, -v23, v24, v22
	v_mul_f32_e64 v6, v23, -v24
	v_cmp_eq_u32_e32 vcc, s0, v0
	v_cndmask_b32_e32 v2, v6, v2, vcc
	s_waitcnt vmcnt(9)
	v_mul_f32_e32 v6, 0x3fb8aa3b, v33
	v_exp_f32_e32 v8, v6
	;; [unrolled: 11-line block ×6, first 2 shown]
	v_add_co_u32_e32 v6, vcc, s14, v20
	v_addc_co_u32_e32 v7, vcc, v3, v21, vcc
	s_movk_i32 s0, 0x4f
	global_store_dword v[6:7], v2, off
	v_fma_f32 v2, -v23, v8, v22
	s_waitcnt vmcnt(7)
	v_mul_f32_e32 v1, 0x3fb8aa3b, v1
	v_exp_f32_e32 v1, v1
	v_mul_f32_e64 v6, v23, -v8
	v_cmp_eq_u32_e32 vcc, s0, v0
	v_cndmask_b32_e32 v2, v6, v2, vcc
	v_add_co_u32_e32 v4, vcc, s14, v4
	v_addc_co_u32_e32 v5, vcc, v3, v5, vcc
	s_movk_i32 s0, 0x50
	global_store_dword v[4:5], v2, off
	v_fma_f32 v2, -v23, v1, v22
	v_mul_f32_e64 v1, v23, -v1
	v_cmp_eq_u32_e32 vcc, s0, v0
	v_cndmask_b32_e32 v2, v1, v2, vcc
	v_add_co_u32_e32 v0, vcc, s14, v10
	v_addc_co_u32_e32 v1, vcc, v3, v11, vcc
	global_store_dword v[0:1], v2, off
.LBB1_4:
	s_endpgm
	.section	.rodata,"a",@progbits
	.p2align	6, 0x0
	.amdhsa_kernel _Z8loss_bwdIffEvPKT_PKT0_S5_PKlS2_S7_PS3_
		.amdhsa_group_segment_fixed_size 0
		.amdhsa_private_segment_fixed_size 0
		.amdhsa_kernarg_size 56
		.amdhsa_user_sgpr_count 6
		.amdhsa_user_sgpr_private_segment_buffer 1
		.amdhsa_user_sgpr_dispatch_ptr 0
		.amdhsa_user_sgpr_queue_ptr 0
		.amdhsa_user_sgpr_kernarg_segment_ptr 1
		.amdhsa_user_sgpr_dispatch_id 0
		.amdhsa_user_sgpr_flat_scratch_init 0
		.amdhsa_user_sgpr_kernarg_preload_length 0
		.amdhsa_user_sgpr_kernarg_preload_offset 0
		.amdhsa_user_sgpr_private_segment_size 0
		.amdhsa_uses_dynamic_stack 0
		.amdhsa_system_sgpr_private_segment_wavefront_offset 0
		.amdhsa_system_sgpr_workgroup_id_x 1
		.amdhsa_system_sgpr_workgroup_id_y 1
		.amdhsa_system_sgpr_workgroup_id_z 0
		.amdhsa_system_sgpr_workgroup_info 0
		.amdhsa_system_vgpr_workitem_id 0
		.amdhsa_next_free_vgpr 37
		.amdhsa_next_free_sgpr 16
		.amdhsa_accum_offset 40
		.amdhsa_reserve_vcc 1
		.amdhsa_reserve_flat_scratch 0
		.amdhsa_float_round_mode_32 0
		.amdhsa_float_round_mode_16_64 0
		.amdhsa_float_denorm_mode_32 3
		.amdhsa_float_denorm_mode_16_64 3
		.amdhsa_dx10_clamp 1
		.amdhsa_ieee_mode 1
		.amdhsa_fp16_overflow 0
		.amdhsa_tg_split 0
		.amdhsa_exception_fp_ieee_invalid_op 0
		.amdhsa_exception_fp_denorm_src 0
		.amdhsa_exception_fp_ieee_div_zero 0
		.amdhsa_exception_fp_ieee_overflow 0
		.amdhsa_exception_fp_ieee_underflow 0
		.amdhsa_exception_fp_ieee_inexact 0
		.amdhsa_exception_int_div_zero 0
	.end_amdhsa_kernel
	.section	.text._Z8loss_bwdIffEvPKT_PKT0_S5_PKlS2_S7_PS3_,"axG",@progbits,_Z8loss_bwdIffEvPKT_PKT0_S5_PKlS2_S7_PS3_,comdat
.Lfunc_end1:
	.size	_Z8loss_bwdIffEvPKT_PKT0_S5_PKlS2_S7_PS3_, .Lfunc_end1-_Z8loss_bwdIffEvPKT_PKT0_S5_PKlS2_S7_PS3_
                                        ; -- End function
	.section	.AMDGPU.csdata,"",@progbits
; Kernel info:
; codeLenInByte = 7816
; NumSgprs: 20
; NumVgprs: 37
; NumAgprs: 0
; TotalNumVgprs: 37
; ScratchSize: 0
; MemoryBound: 0
; FloatMode: 240
; IeeeMode: 1
; LDSByteSize: 0 bytes/workgroup (compile time only)
; SGPRBlocks: 2
; VGPRBlocks: 4
; NumSGPRsForWavesPerEU: 20
; NumVGPRsForWavesPerEU: 37
; AccumOffset: 40
; Occupancy: 8
; WaveLimiterHint : 1
; COMPUTE_PGM_RSRC2:SCRATCH_EN: 0
; COMPUTE_PGM_RSRC2:USER_SGPR: 6
; COMPUTE_PGM_RSRC2:TRAP_HANDLER: 0
; COMPUTE_PGM_RSRC2:TGID_X_EN: 1
; COMPUTE_PGM_RSRC2:TGID_Y_EN: 1
; COMPUTE_PGM_RSRC2:TGID_Z_EN: 0
; COMPUTE_PGM_RSRC2:TIDIG_COMP_CNT: 0
; COMPUTE_PGM_RSRC3_GFX90A:ACCUM_OFFSET: 9
; COMPUTE_PGM_RSRC3_GFX90A:TG_SPLIT: 0
	.section	.text._Z8loss_bwdIddEvPKT_PKT0_S5_PKlS2_S7_PS3_,"axG",@progbits,_Z8loss_bwdIddEvPKT_PKT0_S5_PKlS2_S7_PS3_,comdat
	.protected	_Z8loss_bwdIddEvPKT_PKT0_S5_PKlS2_S7_PS3_ ; -- Begin function _Z8loss_bwdIddEvPKT_PKT0_S5_PKlS2_S7_PS3_
	.globl	_Z8loss_bwdIddEvPKT_PKT0_S5_PKlS2_S7_PS3_
	.p2align	8
	.type	_Z8loss_bwdIddEvPKT_PKT0_S5_PKlS2_S7_PS3_,@function
_Z8loss_bwdIddEvPKT_PKT0_S5_PKlS2_S7_PS3_: ; @_Z8loss_bwdIddEvPKT_PKT0_S5_PKlS2_S7_PS3_
; %bb.0:
	v_lshl_add_u32 v0, s6, 6, v0
	s_movk_i32 s0, 0x221c
	v_cmp_gt_i32_e32 vcc, s0, v0
	s_and_saveexec_b64 s[0:1], vcc
	s_cbranch_execz .LBB2_4
; %bb.1:
	s_load_dwordx4 s[16:19], s[4:5], 0x0
	s_load_dwordx8 s[8:15], s[4:5], 0x18
	s_mul_i32 s0, s7, 0x221c
	v_add_u32_e32 v2, s0, v0
	v_ashrrev_i32_e32 v3, 31, v2
	v_lshlrev_b64 v[4:5], 3, v[2:3]
	s_waitcnt lgkmcnt(0)
	v_mov_b32_e32 v1, s9
	v_add_co_u32_e32 v0, vcc, s8, v4
	v_addc_co_u32_e32 v1, vcc, v1, v5, vcc
	global_load_dwordx2 v[0:1], v[0:1], off
	s_waitcnt vmcnt(0)
	v_mov_b32_e32 v1, s13
	v_add_co_u32_e32 v6, vcc, s12, v4
	v_addc_co_u32_e32 v7, vcc, v1, v5, vcc
	global_load_dwordx2 v[8:9], v[6:7], off
	v_mov_b32_e32 v1, s19
	v_add_co_u32_e32 v6, vcc, s18, v4
	v_addc_co_u32_e32 v7, vcc, v1, v5, vcc
	global_load_dwordx2 v[6:7], v[6:7], off
	s_waitcnt vmcnt(1)
	v_cmp_ne_u64_e32 vcc, 0, v[8:9]
	s_and_saveexec_b64 s[0:1], vcc
	s_cbranch_execz .LBB2_3
; %bb.2:
	s_load_dwordx2 s[2:3], s[4:5], 0x10
	s_waitcnt lgkmcnt(0)
	v_mov_b32_e32 v1, s3
	v_add_co_u32_e32 v8, vcc, s2, v4
	v_addc_co_u32_e32 v9, vcc, v1, v5, vcc
	global_load_dwordx2 v[8:9], v[8:9], off
	s_waitcnt vmcnt(0)
	v_add_f64 v[6:7], v[6:7], v[8:9]
.LBB2_3:
	s_or_b64 exec, exec, s[0:1]
	s_mul_i32 s7, s7, 0xaa8c0
	v_add_u32_e32 v2, s7, v2
	s_movk_i32 s0, 0x221c
	v_mad_u64_u32 v[8:9], s[0:1], v0, s0, v[2:3]
	v_mov_b32_e32 v1, s11
	v_add_co_u32_e32 v4, vcc, s10, v4
	v_addc_co_u32_e32 v5, vcc, v1, v5, vcc
	v_ashrrev_i32_e32 v9, 31, v8
	global_load_dwordx2 v[12:13], v[4:5], off
	v_lshlrev_b64 v[4:5], 3, v[8:9]
	v_mov_b32_e32 v1, s17
	v_add_co_u32_e32 v4, vcc, s16, v4
	v_ashrrev_i32_e32 v3, 31, v2
	v_addc_co_u32_e32 v5, vcc, v1, v5, vcc
	v_lshlrev_b64 v[10:11], 3, v[2:3]
	v_add_co_u32_e32 v8, vcc, s16, v10
	v_addc_co_u32_e32 v9, vcc, v1, v11, vcc
	global_load_dwordx2 v[16:17], v[4:5], off
	global_load_dwordx2 v[14:15], v[8:9], off
	v_add_u32_e32 v4, 0x221c, v2
	v_ashrrev_i32_e32 v5, 31, v4
	v_lshlrev_b64 v[18:19], 3, v[4:5]
	v_add_co_u32_e32 v4, vcc, s16, v18
	v_addc_co_u32_e32 v5, vcc, v1, v19, vcc
	global_load_dwordx2 v[22:23], v[4:5], off
	v_add_u32_e32 v8, 0x4438, v2
	v_ashrrev_i32_e32 v9, 31, v8
	v_lshlrev_b64 v[8:9], 3, v[8:9]
	v_add_co_u32_e32 v20, vcc, s16, v8
	v_addc_co_u32_e32 v21, vcc, v1, v9, vcc
	global_load_dwordx2 v[20:21], v[20:21], off
	s_mov_b32 s34, 0x652b82fe
	s_mov_b32 s35, 0x3ff71547
	;; [unrolled: 1-line block ×11, first 2 shown]
	v_pk_mov_b32 v[4:5], s[0:1], s[0:1] op_sel:[0,1]
	s_mov_b32 s11, 0x3ec71dee
	s_mov_b32 s12, 0x7c89e6b0
	;; [unrolled: 1-line block ×19, first 2 shown]
	v_mov_b32_e32 v28, 0x7ff00000
	v_mov_b32_e32 v3, s15
	s_waitcnt vmcnt(4)
	v_mul_f64 v[6:7], v[12:13], -v[6:7]
	v_cvt_f32_f64_e32 v29, v[6:7]
	s_waitcnt vmcnt(3)
	v_mul_f64 v[6:7], v[6:7], v[16:17]
	s_waitcnt vmcnt(2)
	v_mul_f64 v[12:13], v[14:15], s[34:35]
	v_rndne_f64_e32 v[12:13], v[12:13]
	v_fma_f64 v[16:17], s[30:31], v[12:13], v[14:15]
	v_fmac_f64_e32 v[16:17], s[6:7], v[12:13]
	v_cvt_i32_f64_e32 v24, v[12:13]
	v_fma_f64 v[12:13], s[8:9], v[16:17], v[4:5]
	v_fma_f64 v[12:13], v[16:17], v[12:13], s[10:11]
	;; [unrolled: 1-line block ×9, first 2 shown]
	v_fma_f64 v[12:13], v[16:17], v[12:13], 1.0
	v_fma_f64 v[12:13], v[16:17], v[12:13], 1.0
	v_ldexp_f64 v[12:13], v[12:13], v24
	v_cmp_nlt_f64_e32 vcc, s[2:3], v[14:15]
	v_cmp_ngt_f64_e64 s[0:1], s[4:5], v[14:15]
	v_cvt_f32_f64_e32 v6, v[6:7]
	v_cndmask_b32_e32 v13, v28, v13, vcc
	s_and_b64 vcc, s[0:1], vcc
	v_cvt_f64_f32_e32 v[6:7], v6
	v_cndmask_b32_e64 v13, 0, v13, s[0:1]
	v_cndmask_b32_e32 v12, 0, v12, vcc
	v_mul_f64 v[12:13], v[12:13], v[6:7]
	v_cvt_f32_f64_e32 v12, v[12:13]
	v_sub_f32_e32 v13, v29, v12
	v_cmp_eq_u32_e32 vcc, 0, v0
	v_cndmask_b32_e64 v12, -v12, v13, vcc
	v_add_co_u32_e32 v10, vcc, s14, v10
	v_cvt_f64_f32_e32 v[12:13], v12
	v_addc_co_u32_e32 v11, vcc, v3, v11, vcc
	global_store_dwordx2 v[10:11], v[12:13], off
	s_waitcnt vmcnt(2)
	v_mul_f64 v[10:11], v[22:23], s[34:35]
	v_rndne_f64_e32 v[14:15], v[10:11]
	v_fma_f64 v[16:17], s[30:31], v[14:15], v[22:23]
	v_fmac_f64_e32 v[16:17], s[6:7], v[14:15]
	v_fma_f64 v[10:11], s[8:9], v[16:17], v[4:5]
	v_fma_f64 v[10:11], v[16:17], v[10:11], s[10:11]
	;; [unrolled: 1-line block ×9, first 2 shown]
	v_add_u32_e32 v10, 0x6654, v2
	v_ashrrev_i32_e32 v11, 31, v10
	v_lshlrev_b64 v[10:11], 3, v[10:11]
	v_add_co_u32_e32 v12, vcc, s16, v10
	v_addc_co_u32_e32 v13, vcc, v1, v11, vcc
	global_load_dwordx2 v[12:13], v[12:13], off
	v_fma_f64 v[24:25], v[16:17], v[24:25], 1.0
	v_fma_f64 v[16:17], v[16:17], v[24:25], 1.0
	v_cvt_i32_f64_e32 v14, v[14:15]
	v_ldexp_f64 v[14:15], v[16:17], v14
	v_cmp_nlt_f64_e32 vcc, s[2:3], v[22:23]
	v_cmp_ngt_f64_e64 s[0:1], s[4:5], v[22:23]
	v_cndmask_b32_e32 v15, v28, v15, vcc
	s_and_b64 vcc, s[0:1], vcc
	v_cndmask_b32_e64 v15, 0, v15, s[0:1]
	v_cndmask_b32_e32 v14, 0, v14, vcc
	v_mul_f64 v[14:15], v[14:15], v[6:7]
	v_cvt_f32_f64_e32 v14, v[14:15]
	v_sub_f32_e32 v15, v29, v14
	v_cmp_eq_u32_e32 vcc, 1, v0
	v_cndmask_b32_e64 v14, -v14, v15, vcc
	v_add_co_u32_e32 v16, vcc, s14, v18
	v_add_u32_e32 v18, 0x8870, v2
	v_addc_co_u32_e32 v17, vcc, v3, v19, vcc
	v_ashrrev_i32_e32 v19, 31, v18
	v_lshlrev_b64 v[18:19], 3, v[18:19]
	v_add_co_u32_e32 v22, vcc, s16, v18
	v_cvt_f64_f32_e32 v[14:15], v14
	v_addc_co_u32_e32 v23, vcc, v1, v19, vcc
	global_store_dwordx2 v[16:17], v[14:15], off
	s_waitcnt vmcnt(3)
	v_mul_f64 v[14:15], v[20:21], s[34:35]
	global_load_dwordx2 v[22:23], v[22:23], off
	v_rndne_f64_e32 v[14:15], v[14:15]
	v_fma_f64 v[16:17], s[30:31], v[14:15], v[20:21]
	v_fmac_f64_e32 v[16:17], s[6:7], v[14:15]
	v_fma_f64 v[24:25], s[8:9], v[16:17], v[4:5]
	v_fma_f64 v[24:25], v[16:17], v[24:25], s[10:11]
	v_fma_f64 v[24:25], v[16:17], v[24:25], s[12:13]
	v_fma_f64 v[24:25], v[16:17], v[24:25], s[18:19]
	v_fma_f64 v[24:25], v[16:17], v[24:25], s[20:21]
	v_fma_f64 v[24:25], v[16:17], v[24:25], s[22:23]
	v_fma_f64 v[24:25], v[16:17], v[24:25], s[24:25]
	v_fma_f64 v[24:25], v[16:17], v[24:25], s[26:27]
	v_fma_f64 v[24:25], v[16:17], v[24:25], s[28:29]
	v_fma_f64 v[24:25], v[16:17], v[24:25], 1.0
	v_fma_f64 v[16:17], v[16:17], v[24:25], 1.0
	v_cvt_i32_f64_e32 v14, v[14:15]
	v_ldexp_f64 v[14:15], v[16:17], v14
	v_cmp_nlt_f64_e32 vcc, s[2:3], v[20:21]
	v_cmp_ngt_f64_e64 s[0:1], s[4:5], v[20:21]
	v_cndmask_b32_e32 v15, v28, v15, vcc
	s_and_b64 vcc, s[0:1], vcc
	v_cndmask_b32_e64 v15, 0, v15, s[0:1]
	v_cndmask_b32_e32 v14, 0, v14, vcc
	v_mul_f64 v[14:15], v[14:15], v[6:7]
	v_add_u32_e32 v16, 0xaa8c, v2
	v_cvt_f32_f64_e32 v14, v[14:15]
	v_ashrrev_i32_e32 v17, 31, v16
	v_sub_f32_e32 v15, v29, v14
	v_cmp_eq_u32_e32 vcc, 2, v0
	v_lshlrev_b64 v[16:17], 3, v[16:17]
	v_cndmask_b32_e64 v14, -v14, v15, vcc
	v_add_co_u32_e32 v20, vcc, s16, v16
	v_addc_co_u32_e32 v21, vcc, v1, v17, vcc
	global_load_dwordx2 v[20:21], v[20:21], off
	v_add_co_u32_e32 v8, vcc, s14, v8
	v_cvt_f64_f32_e32 v[14:15], v14
	v_addc_co_u32_e32 v9, vcc, v3, v9, vcc
	global_store_dwordx2 v[8:9], v[14:15], off
	v_add_u32_e32 v8, 0xcca8, v2
	v_ashrrev_i32_e32 v9, 31, v8
	v_lshlrev_b64 v[8:9], 3, v[8:9]
	v_add_co_u32_e32 v14, vcc, s16, v8
	v_addc_co_u32_e32 v15, vcc, v1, v9, vcc
	global_load_dwordx2 v[14:15], v[14:15], off
	s_waitcnt vmcnt(5)
	v_mul_f64 v[24:25], v[12:13], s[34:35]
	v_rndne_f64_e32 v[24:25], v[24:25]
	v_fma_f64 v[26:27], s[30:31], v[24:25], v[12:13]
	v_fmac_f64_e32 v[26:27], s[6:7], v[24:25]
	v_fma_f64 v[30:31], s[8:9], v[26:27], v[4:5]
	v_fma_f64 v[30:31], v[26:27], v[30:31], s[10:11]
	;; [unrolled: 1-line block ×9, first 2 shown]
	v_fma_f64 v[30:31], v[26:27], v[30:31], 1.0
	v_fma_f64 v[26:27], v[26:27], v[30:31], 1.0
	v_cvt_i32_f64_e32 v24, v[24:25]
	v_ldexp_f64 v[24:25], v[26:27], v24
	v_cmp_nlt_f64_e32 vcc, s[2:3], v[12:13]
	v_cmp_ngt_f64_e64 s[0:1], s[4:5], v[12:13]
	v_cndmask_b32_e32 v25, v28, v25, vcc
	s_and_b64 vcc, s[0:1], vcc
	v_cndmask_b32_e64 v13, 0, v25, s[0:1]
	v_cndmask_b32_e32 v12, 0, v24, vcc
	v_mul_f64 v[12:13], v[12:13], v[6:7]
	v_cvt_f32_f64_e32 v12, v[12:13]
	v_sub_f32_e32 v13, v29, v12
	v_cmp_eq_u32_e32 vcc, 3, v0
	v_cndmask_b32_e64 v12, -v12, v13, vcc
	v_add_co_u32_e32 v10, vcc, s14, v10
	v_cvt_f64_f32_e32 v[12:13], v12
	v_addc_co_u32_e32 v11, vcc, v3, v11, vcc
	global_store_dwordx2 v[10:11], v[12:13], off
	s_waitcnt vmcnt(4)
	v_mul_f64 v[10:11], v[22:23], s[34:35]
	v_rndne_f64_e32 v[10:11], v[10:11]
	v_fma_f64 v[12:13], s[30:31], v[10:11], v[22:23]
	v_fmac_f64_e32 v[12:13], s[6:7], v[10:11]
	v_fma_f64 v[24:25], s[8:9], v[12:13], v[4:5]
	v_fma_f64 v[24:25], v[12:13], v[24:25], s[10:11]
	;; [unrolled: 1-line block ×9, first 2 shown]
	v_fma_f64 v[24:25], v[12:13], v[24:25], 1.0
	v_fma_f64 v[12:13], v[12:13], v[24:25], 1.0
	v_cvt_i32_f64_e32 v10, v[10:11]
	v_ldexp_f64 v[10:11], v[12:13], v10
	v_cmp_nlt_f64_e32 vcc, s[2:3], v[22:23]
	v_cmp_ngt_f64_e64 s[0:1], s[4:5], v[22:23]
	v_cndmask_b32_e32 v11, v28, v11, vcc
	s_and_b64 vcc, s[0:1], vcc
	v_cndmask_b32_e64 v11, 0, v11, s[0:1]
	v_cndmask_b32_e32 v10, 0, v10, vcc
	v_mul_f64 v[10:11], v[10:11], v[6:7]
	v_cvt_f32_f64_e32 v10, v[10:11]
	v_sub_f32_e32 v11, v29, v10
	v_cmp_eq_u32_e32 vcc, 4, v0
	v_cndmask_b32_e64 v10, -v10, v11, vcc
	v_add_co_u32_e32 v12, vcc, s14, v18
	v_cvt_f64_f32_e32 v[10:11], v10
	v_addc_co_u32_e32 v13, vcc, v3, v19, vcc
	global_store_dwordx2 v[12:13], v[10:11], off
	s_waitcnt vmcnt(4)
	v_mul_f64 v[10:11], v[20:21], s[34:35]
	v_rndne_f64_e32 v[18:19], v[10:11]
	v_fma_f64 v[22:23], s[30:31], v[18:19], v[20:21]
	v_fmac_f64_e32 v[22:23], s[6:7], v[18:19]
	v_fma_f64 v[10:11], s[8:9], v[22:23], v[4:5]
	v_fma_f64 v[10:11], v[22:23], v[10:11], s[10:11]
	;; [unrolled: 1-line block ×9, first 2 shown]
	v_add_u32_e32 v10, 0xeec4, v2
	v_ashrrev_i32_e32 v11, 31, v10
	v_lshlrev_b64 v[10:11], 3, v[10:11]
	v_add_co_u32_e32 v12, vcc, s16, v10
	v_addc_co_u32_e32 v13, vcc, v1, v11, vcc
	global_load_dwordx2 v[12:13], v[12:13], off
	v_fma_f64 v[24:25], v[22:23], v[24:25], 1.0
	v_fma_f64 v[22:23], v[22:23], v[24:25], 1.0
	v_cvt_i32_f64_e32 v18, v[18:19]
	v_ldexp_f64 v[18:19], v[22:23], v18
	v_cmp_nlt_f64_e32 vcc, s[2:3], v[20:21]
	v_cmp_ngt_f64_e64 s[0:1], s[4:5], v[20:21]
	v_cndmask_b32_e32 v19, v28, v19, vcc
	s_and_b64 vcc, s[0:1], vcc
	v_cndmask_b32_e64 v19, 0, v19, s[0:1]
	v_cndmask_b32_e32 v18, 0, v18, vcc
	v_mul_f64 v[18:19], v[18:19], v[6:7]
	v_cvt_f32_f64_e32 v18, v[18:19]
	v_sub_f32_e32 v19, v29, v18
	v_cmp_eq_u32_e32 vcc, 5, v0
	v_cndmask_b32_e64 v18, -v18, v19, vcc
	v_add_co_u32_e32 v16, vcc, s14, v16
	v_cvt_f64_f32_e32 v[18:19], v18
	v_addc_co_u32_e32 v17, vcc, v3, v17, vcc
	global_store_dwordx2 v[16:17], v[18:19], off
	v_add_u32_e32 v18, 0x110e0, v2
	v_ashrrev_i32_e32 v19, 31, v18
	v_lshlrev_b64 v[18:19], 3, v[18:19]
	v_add_co_u32_e32 v22, vcc, s16, v18
	v_addc_co_u32_e32 v23, vcc, v1, v19, vcc
	s_waitcnt vmcnt(4)
	v_mul_f64 v[16:17], v[14:15], s[34:35]
	global_load_dwordx2 v[22:23], v[22:23], off
	v_rndne_f64_e32 v[16:17], v[16:17]
	v_fma_f64 v[20:21], s[30:31], v[16:17], v[14:15]
	v_fmac_f64_e32 v[20:21], s[6:7], v[16:17]
	v_fma_f64 v[24:25], s[8:9], v[20:21], v[4:5]
	v_fma_f64 v[24:25], v[20:21], v[24:25], s[10:11]
	;; [unrolled: 1-line block ×9, first 2 shown]
	v_fma_f64 v[24:25], v[20:21], v[24:25], 1.0
	v_fma_f64 v[20:21], v[20:21], v[24:25], 1.0
	v_cvt_i32_f64_e32 v16, v[16:17]
	v_ldexp_f64 v[16:17], v[20:21], v16
	v_cmp_nlt_f64_e32 vcc, s[2:3], v[14:15]
	v_cmp_ngt_f64_e64 s[0:1], s[4:5], v[14:15]
	v_cndmask_b32_e32 v17, v28, v17, vcc
	s_and_b64 vcc, s[0:1], vcc
	v_cndmask_b32_e64 v15, 0, v17, s[0:1]
	v_cndmask_b32_e32 v14, 0, v16, vcc
	v_mul_f64 v[14:15], v[14:15], v[6:7]
	v_add_u32_e32 v16, 0x132fc, v2
	v_cvt_f32_f64_e32 v14, v[14:15]
	v_ashrrev_i32_e32 v17, 31, v16
	v_sub_f32_e32 v15, v29, v14
	v_cmp_eq_u32_e32 vcc, 6, v0
	v_lshlrev_b64 v[16:17], 3, v[16:17]
	v_cndmask_b32_e64 v14, -v14, v15, vcc
	v_add_co_u32_e32 v20, vcc, s16, v16
	v_addc_co_u32_e32 v21, vcc, v1, v17, vcc
	global_load_dwordx2 v[20:21], v[20:21], off
	v_add_co_u32_e32 v8, vcc, s14, v8
	v_cvt_f64_f32_e32 v[14:15], v14
	v_addc_co_u32_e32 v9, vcc, v3, v9, vcc
	global_store_dwordx2 v[8:9], v[14:15], off
	v_add_u32_e32 v8, 0x15518, v2
	v_ashrrev_i32_e32 v9, 31, v8
	v_lshlrev_b64 v[8:9], 3, v[8:9]
	v_add_co_u32_e32 v14, vcc, s16, v8
	v_addc_co_u32_e32 v15, vcc, v1, v9, vcc
	global_load_dwordx2 v[14:15], v[14:15], off
	s_waitcnt vmcnt(5)
	v_mul_f64 v[24:25], v[12:13], s[34:35]
	v_rndne_f64_e32 v[24:25], v[24:25]
	v_fma_f64 v[26:27], s[30:31], v[24:25], v[12:13]
	v_fmac_f64_e32 v[26:27], s[6:7], v[24:25]
	v_fma_f64 v[30:31], s[8:9], v[26:27], v[4:5]
	v_fma_f64 v[30:31], v[26:27], v[30:31], s[10:11]
	;; [unrolled: 1-line block ×9, first 2 shown]
	v_fma_f64 v[30:31], v[26:27], v[30:31], 1.0
	v_fma_f64 v[26:27], v[26:27], v[30:31], 1.0
	v_cvt_i32_f64_e32 v24, v[24:25]
	v_ldexp_f64 v[24:25], v[26:27], v24
	v_cmp_nlt_f64_e32 vcc, s[2:3], v[12:13]
	v_cmp_ngt_f64_e64 s[0:1], s[4:5], v[12:13]
	v_cndmask_b32_e32 v25, v28, v25, vcc
	s_and_b64 vcc, s[0:1], vcc
	v_cndmask_b32_e64 v13, 0, v25, s[0:1]
	v_cndmask_b32_e32 v12, 0, v24, vcc
	v_mul_f64 v[12:13], v[12:13], v[6:7]
	v_cvt_f32_f64_e32 v12, v[12:13]
	v_sub_f32_e32 v13, v29, v12
	v_cmp_eq_u32_e32 vcc, 7, v0
	v_cndmask_b32_e64 v12, -v12, v13, vcc
	v_add_co_u32_e32 v10, vcc, s14, v10
	v_cvt_f64_f32_e32 v[12:13], v12
	v_addc_co_u32_e32 v11, vcc, v3, v11, vcc
	global_store_dwordx2 v[10:11], v[12:13], off
	s_waitcnt vmcnt(4)
	v_mul_f64 v[10:11], v[22:23], s[34:35]
	v_rndne_f64_e32 v[10:11], v[10:11]
	v_fma_f64 v[12:13], s[30:31], v[10:11], v[22:23]
	v_fmac_f64_e32 v[12:13], s[6:7], v[10:11]
	v_fma_f64 v[24:25], s[8:9], v[12:13], v[4:5]
	v_fma_f64 v[24:25], v[12:13], v[24:25], s[10:11]
	;; [unrolled: 1-line block ×9, first 2 shown]
	v_fma_f64 v[24:25], v[12:13], v[24:25], 1.0
	v_fma_f64 v[12:13], v[12:13], v[24:25], 1.0
	v_cvt_i32_f64_e32 v10, v[10:11]
	v_ldexp_f64 v[10:11], v[12:13], v10
	v_cmp_nlt_f64_e32 vcc, s[2:3], v[22:23]
	v_cmp_ngt_f64_e64 s[0:1], s[4:5], v[22:23]
	v_cndmask_b32_e32 v11, v28, v11, vcc
	s_and_b64 vcc, s[0:1], vcc
	v_cndmask_b32_e64 v11, 0, v11, s[0:1]
	v_cndmask_b32_e32 v10, 0, v10, vcc
	v_mul_f64 v[10:11], v[10:11], v[6:7]
	v_cvt_f32_f64_e32 v10, v[10:11]
	v_sub_f32_e32 v11, v29, v10
	v_cmp_eq_u32_e32 vcc, 8, v0
	v_cndmask_b32_e64 v10, -v10, v11, vcc
	v_add_co_u32_e32 v12, vcc, s14, v18
	v_cvt_f64_f32_e32 v[10:11], v10
	v_addc_co_u32_e32 v13, vcc, v3, v19, vcc
	global_store_dwordx2 v[12:13], v[10:11], off
	s_waitcnt vmcnt(4)
	v_mul_f64 v[10:11], v[20:21], s[34:35]
	v_rndne_f64_e32 v[18:19], v[10:11]
	v_fma_f64 v[22:23], s[30:31], v[18:19], v[20:21]
	v_fmac_f64_e32 v[22:23], s[6:7], v[18:19]
	v_fma_f64 v[10:11], s[8:9], v[22:23], v[4:5]
	v_fma_f64 v[10:11], v[22:23], v[10:11], s[10:11]
	;; [unrolled: 1-line block ×9, first 2 shown]
	v_add_u32_e32 v10, 0x17734, v2
	v_ashrrev_i32_e32 v11, 31, v10
	v_lshlrev_b64 v[10:11], 3, v[10:11]
	v_add_co_u32_e32 v12, vcc, s16, v10
	v_addc_co_u32_e32 v13, vcc, v1, v11, vcc
	global_load_dwordx2 v[12:13], v[12:13], off
	v_fma_f64 v[24:25], v[22:23], v[24:25], 1.0
	v_fma_f64 v[22:23], v[22:23], v[24:25], 1.0
	v_cvt_i32_f64_e32 v18, v[18:19]
	v_ldexp_f64 v[18:19], v[22:23], v18
	v_cmp_nlt_f64_e32 vcc, s[2:3], v[20:21]
	v_cmp_ngt_f64_e64 s[0:1], s[4:5], v[20:21]
	v_cndmask_b32_e32 v19, v28, v19, vcc
	s_and_b64 vcc, s[0:1], vcc
	v_cndmask_b32_e64 v19, 0, v19, s[0:1]
	v_cndmask_b32_e32 v18, 0, v18, vcc
	v_mul_f64 v[18:19], v[18:19], v[6:7]
	v_cvt_f32_f64_e32 v18, v[18:19]
	v_sub_f32_e32 v19, v29, v18
	v_cmp_eq_u32_e32 vcc, 9, v0
	v_cndmask_b32_e64 v18, -v18, v19, vcc
	v_add_co_u32_e32 v16, vcc, s14, v16
	v_cvt_f64_f32_e32 v[18:19], v18
	v_addc_co_u32_e32 v17, vcc, v3, v17, vcc
	global_store_dwordx2 v[16:17], v[18:19], off
	v_add_u32_e32 v18, 0x19950, v2
	v_ashrrev_i32_e32 v19, 31, v18
	v_lshlrev_b64 v[18:19], 3, v[18:19]
	v_add_co_u32_e32 v22, vcc, s16, v18
	v_addc_co_u32_e32 v23, vcc, v1, v19, vcc
	s_waitcnt vmcnt(4)
	v_mul_f64 v[16:17], v[14:15], s[34:35]
	global_load_dwordx2 v[22:23], v[22:23], off
	v_rndne_f64_e32 v[16:17], v[16:17]
	v_fma_f64 v[20:21], s[30:31], v[16:17], v[14:15]
	v_fmac_f64_e32 v[20:21], s[6:7], v[16:17]
	v_fma_f64 v[24:25], s[8:9], v[20:21], v[4:5]
	v_fma_f64 v[24:25], v[20:21], v[24:25], s[10:11]
	;; [unrolled: 1-line block ×9, first 2 shown]
	v_fma_f64 v[24:25], v[20:21], v[24:25], 1.0
	v_fma_f64 v[20:21], v[20:21], v[24:25], 1.0
	v_cvt_i32_f64_e32 v16, v[16:17]
	v_ldexp_f64 v[16:17], v[20:21], v16
	v_cmp_nlt_f64_e32 vcc, s[2:3], v[14:15]
	v_cmp_ngt_f64_e64 s[0:1], s[4:5], v[14:15]
	v_cndmask_b32_e32 v17, v28, v17, vcc
	s_and_b64 vcc, s[0:1], vcc
	v_cndmask_b32_e64 v15, 0, v17, s[0:1]
	v_cndmask_b32_e32 v14, 0, v16, vcc
	v_mul_f64 v[14:15], v[14:15], v[6:7]
	v_add_u32_e32 v16, 0x1bb6c, v2
	v_cvt_f32_f64_e32 v14, v[14:15]
	v_ashrrev_i32_e32 v17, 31, v16
	v_sub_f32_e32 v15, v29, v14
	v_cmp_eq_u32_e32 vcc, 10, v0
	v_lshlrev_b64 v[16:17], 3, v[16:17]
	v_cndmask_b32_e64 v14, -v14, v15, vcc
	v_add_co_u32_e32 v20, vcc, s16, v16
	v_addc_co_u32_e32 v21, vcc, v1, v17, vcc
	global_load_dwordx2 v[20:21], v[20:21], off
	v_add_co_u32_e32 v8, vcc, s14, v8
	v_cvt_f64_f32_e32 v[14:15], v14
	v_addc_co_u32_e32 v9, vcc, v3, v9, vcc
	global_store_dwordx2 v[8:9], v[14:15], off
	v_add_u32_e32 v8, 0x1dd88, v2
	v_ashrrev_i32_e32 v9, 31, v8
	v_lshlrev_b64 v[8:9], 3, v[8:9]
	v_add_co_u32_e32 v14, vcc, s16, v8
	v_addc_co_u32_e32 v15, vcc, v1, v9, vcc
	global_load_dwordx2 v[14:15], v[14:15], off
	s_waitcnt vmcnt(5)
	v_mul_f64 v[24:25], v[12:13], s[34:35]
	v_rndne_f64_e32 v[24:25], v[24:25]
	v_fma_f64 v[26:27], s[30:31], v[24:25], v[12:13]
	v_fmac_f64_e32 v[26:27], s[6:7], v[24:25]
	v_fma_f64 v[30:31], s[8:9], v[26:27], v[4:5]
	v_fma_f64 v[30:31], v[26:27], v[30:31], s[10:11]
	v_fma_f64 v[30:31], v[26:27], v[30:31], s[12:13]
	v_fma_f64 v[30:31], v[26:27], v[30:31], s[18:19]
	v_fma_f64 v[30:31], v[26:27], v[30:31], s[20:21]
	v_fma_f64 v[30:31], v[26:27], v[30:31], s[22:23]
	v_fma_f64 v[30:31], v[26:27], v[30:31], s[24:25]
	v_fma_f64 v[30:31], v[26:27], v[30:31], s[26:27]
	v_fma_f64 v[30:31], v[26:27], v[30:31], s[28:29]
	v_fma_f64 v[30:31], v[26:27], v[30:31], 1.0
	v_fma_f64 v[26:27], v[26:27], v[30:31], 1.0
	v_cvt_i32_f64_e32 v24, v[24:25]
	v_ldexp_f64 v[24:25], v[26:27], v24
	v_cmp_nlt_f64_e32 vcc, s[2:3], v[12:13]
	v_cmp_ngt_f64_e64 s[0:1], s[4:5], v[12:13]
	v_cndmask_b32_e32 v25, v28, v25, vcc
	s_and_b64 vcc, s[0:1], vcc
	v_cndmask_b32_e64 v13, 0, v25, s[0:1]
	v_cndmask_b32_e32 v12, 0, v24, vcc
	v_mul_f64 v[12:13], v[12:13], v[6:7]
	v_cvt_f32_f64_e32 v12, v[12:13]
	v_sub_f32_e32 v13, v29, v12
	v_cmp_eq_u32_e32 vcc, 11, v0
	v_cndmask_b32_e64 v12, -v12, v13, vcc
	v_add_co_u32_e32 v10, vcc, s14, v10
	v_cvt_f64_f32_e32 v[12:13], v12
	v_addc_co_u32_e32 v11, vcc, v3, v11, vcc
	global_store_dwordx2 v[10:11], v[12:13], off
	s_waitcnt vmcnt(4)
	v_mul_f64 v[10:11], v[22:23], s[34:35]
	v_rndne_f64_e32 v[10:11], v[10:11]
	v_fma_f64 v[12:13], s[30:31], v[10:11], v[22:23]
	v_fmac_f64_e32 v[12:13], s[6:7], v[10:11]
	v_fma_f64 v[24:25], s[8:9], v[12:13], v[4:5]
	v_fma_f64 v[24:25], v[12:13], v[24:25], s[10:11]
	;; [unrolled: 1-line block ×9, first 2 shown]
	v_fma_f64 v[24:25], v[12:13], v[24:25], 1.0
	v_fma_f64 v[12:13], v[12:13], v[24:25], 1.0
	v_cvt_i32_f64_e32 v10, v[10:11]
	v_ldexp_f64 v[10:11], v[12:13], v10
	v_cmp_nlt_f64_e32 vcc, s[2:3], v[22:23]
	v_cmp_ngt_f64_e64 s[0:1], s[4:5], v[22:23]
	v_cndmask_b32_e32 v11, v28, v11, vcc
	s_and_b64 vcc, s[0:1], vcc
	v_cndmask_b32_e64 v11, 0, v11, s[0:1]
	v_cndmask_b32_e32 v10, 0, v10, vcc
	v_mul_f64 v[10:11], v[10:11], v[6:7]
	v_cvt_f32_f64_e32 v10, v[10:11]
	v_sub_f32_e32 v11, v29, v10
	v_cmp_eq_u32_e32 vcc, 12, v0
	v_cndmask_b32_e64 v10, -v10, v11, vcc
	v_add_co_u32_e32 v12, vcc, s14, v18
	v_cvt_f64_f32_e32 v[10:11], v10
	v_addc_co_u32_e32 v13, vcc, v3, v19, vcc
	global_store_dwordx2 v[12:13], v[10:11], off
	s_waitcnt vmcnt(4)
	v_mul_f64 v[10:11], v[20:21], s[34:35]
	v_rndne_f64_e32 v[18:19], v[10:11]
	v_fma_f64 v[22:23], s[30:31], v[18:19], v[20:21]
	v_fmac_f64_e32 v[22:23], s[6:7], v[18:19]
	v_fma_f64 v[10:11], s[8:9], v[22:23], v[4:5]
	v_fma_f64 v[10:11], v[22:23], v[10:11], s[10:11]
	;; [unrolled: 1-line block ×9, first 2 shown]
	v_add_u32_e32 v10, 0x1ffa4, v2
	v_ashrrev_i32_e32 v11, 31, v10
	v_lshlrev_b64 v[10:11], 3, v[10:11]
	v_add_co_u32_e32 v12, vcc, s16, v10
	v_addc_co_u32_e32 v13, vcc, v1, v11, vcc
	global_load_dwordx2 v[12:13], v[12:13], off
	v_fma_f64 v[24:25], v[22:23], v[24:25], 1.0
	v_fma_f64 v[22:23], v[22:23], v[24:25], 1.0
	v_cvt_i32_f64_e32 v18, v[18:19]
	v_ldexp_f64 v[18:19], v[22:23], v18
	v_cmp_nlt_f64_e32 vcc, s[2:3], v[20:21]
	v_cmp_ngt_f64_e64 s[0:1], s[4:5], v[20:21]
	v_cndmask_b32_e32 v19, v28, v19, vcc
	s_and_b64 vcc, s[0:1], vcc
	v_cndmask_b32_e64 v19, 0, v19, s[0:1]
	v_cndmask_b32_e32 v18, 0, v18, vcc
	v_mul_f64 v[18:19], v[18:19], v[6:7]
	v_cvt_f32_f64_e32 v18, v[18:19]
	v_sub_f32_e32 v19, v29, v18
	v_cmp_eq_u32_e32 vcc, 13, v0
	v_cndmask_b32_e64 v18, -v18, v19, vcc
	v_add_co_u32_e32 v16, vcc, s14, v16
	v_cvt_f64_f32_e32 v[18:19], v18
	v_addc_co_u32_e32 v17, vcc, v3, v17, vcc
	global_store_dwordx2 v[16:17], v[18:19], off
	v_add_u32_e32 v18, 0x221c0, v2
	v_ashrrev_i32_e32 v19, 31, v18
	v_lshlrev_b64 v[18:19], 3, v[18:19]
	v_add_co_u32_e32 v22, vcc, s16, v18
	v_addc_co_u32_e32 v23, vcc, v1, v19, vcc
	s_waitcnt vmcnt(4)
	v_mul_f64 v[16:17], v[14:15], s[34:35]
	global_load_dwordx2 v[22:23], v[22:23], off
	v_rndne_f64_e32 v[16:17], v[16:17]
	v_fma_f64 v[20:21], s[30:31], v[16:17], v[14:15]
	v_fmac_f64_e32 v[20:21], s[6:7], v[16:17]
	v_fma_f64 v[24:25], s[8:9], v[20:21], v[4:5]
	v_fma_f64 v[24:25], v[20:21], v[24:25], s[10:11]
	;; [unrolled: 1-line block ×9, first 2 shown]
	v_fma_f64 v[24:25], v[20:21], v[24:25], 1.0
	v_fma_f64 v[20:21], v[20:21], v[24:25], 1.0
	v_cvt_i32_f64_e32 v16, v[16:17]
	v_ldexp_f64 v[16:17], v[20:21], v16
	v_cmp_nlt_f64_e32 vcc, s[2:3], v[14:15]
	v_cmp_ngt_f64_e64 s[0:1], s[4:5], v[14:15]
	v_cndmask_b32_e32 v17, v28, v17, vcc
	s_and_b64 vcc, s[0:1], vcc
	v_cndmask_b32_e64 v15, 0, v17, s[0:1]
	v_cndmask_b32_e32 v14, 0, v16, vcc
	v_mul_f64 v[14:15], v[14:15], v[6:7]
	v_add_u32_e32 v16, 0x243dc, v2
	v_cvt_f32_f64_e32 v14, v[14:15]
	v_ashrrev_i32_e32 v17, 31, v16
	v_sub_f32_e32 v15, v29, v14
	v_cmp_eq_u32_e32 vcc, 14, v0
	v_lshlrev_b64 v[16:17], 3, v[16:17]
	v_cndmask_b32_e64 v14, -v14, v15, vcc
	v_add_co_u32_e32 v20, vcc, s16, v16
	v_addc_co_u32_e32 v21, vcc, v1, v17, vcc
	global_load_dwordx2 v[20:21], v[20:21], off
	v_add_co_u32_e32 v8, vcc, s14, v8
	v_cvt_f64_f32_e32 v[14:15], v14
	v_addc_co_u32_e32 v9, vcc, v3, v9, vcc
	global_store_dwordx2 v[8:9], v[14:15], off
	v_add_u32_e32 v8, 0x265f8, v2
	v_ashrrev_i32_e32 v9, 31, v8
	v_lshlrev_b64 v[8:9], 3, v[8:9]
	v_add_co_u32_e32 v14, vcc, s16, v8
	v_addc_co_u32_e32 v15, vcc, v1, v9, vcc
	global_load_dwordx2 v[14:15], v[14:15], off
	s_waitcnt vmcnt(5)
	v_mul_f64 v[24:25], v[12:13], s[34:35]
	v_rndne_f64_e32 v[24:25], v[24:25]
	v_fma_f64 v[26:27], s[30:31], v[24:25], v[12:13]
	v_fmac_f64_e32 v[26:27], s[6:7], v[24:25]
	v_fma_f64 v[30:31], s[8:9], v[26:27], v[4:5]
	v_fma_f64 v[30:31], v[26:27], v[30:31], s[10:11]
	;; [unrolled: 1-line block ×9, first 2 shown]
	v_fma_f64 v[30:31], v[26:27], v[30:31], 1.0
	v_fma_f64 v[26:27], v[26:27], v[30:31], 1.0
	v_cvt_i32_f64_e32 v24, v[24:25]
	v_ldexp_f64 v[24:25], v[26:27], v24
	v_cmp_nlt_f64_e32 vcc, s[2:3], v[12:13]
	v_cmp_ngt_f64_e64 s[0:1], s[4:5], v[12:13]
	v_cndmask_b32_e32 v25, v28, v25, vcc
	s_and_b64 vcc, s[0:1], vcc
	v_cndmask_b32_e64 v13, 0, v25, s[0:1]
	v_cndmask_b32_e32 v12, 0, v24, vcc
	v_mul_f64 v[12:13], v[12:13], v[6:7]
	v_cvt_f32_f64_e32 v12, v[12:13]
	v_sub_f32_e32 v13, v29, v12
	v_cmp_eq_u32_e32 vcc, 15, v0
	v_cndmask_b32_e64 v12, -v12, v13, vcc
	v_add_co_u32_e32 v10, vcc, s14, v10
	v_cvt_f64_f32_e32 v[12:13], v12
	v_addc_co_u32_e32 v11, vcc, v3, v11, vcc
	global_store_dwordx2 v[10:11], v[12:13], off
	s_waitcnt vmcnt(4)
	v_mul_f64 v[10:11], v[22:23], s[34:35]
	v_rndne_f64_e32 v[10:11], v[10:11]
	v_fma_f64 v[12:13], s[30:31], v[10:11], v[22:23]
	v_fmac_f64_e32 v[12:13], s[6:7], v[10:11]
	v_fma_f64 v[24:25], s[8:9], v[12:13], v[4:5]
	v_fma_f64 v[24:25], v[12:13], v[24:25], s[10:11]
	;; [unrolled: 1-line block ×9, first 2 shown]
	v_fma_f64 v[24:25], v[12:13], v[24:25], 1.0
	v_fma_f64 v[12:13], v[12:13], v[24:25], 1.0
	v_cvt_i32_f64_e32 v10, v[10:11]
	v_ldexp_f64 v[10:11], v[12:13], v10
	v_cmp_nlt_f64_e32 vcc, s[2:3], v[22:23]
	v_cmp_ngt_f64_e64 s[0:1], s[4:5], v[22:23]
	v_cndmask_b32_e32 v11, v28, v11, vcc
	s_and_b64 vcc, s[0:1], vcc
	v_cndmask_b32_e64 v11, 0, v11, s[0:1]
	v_cndmask_b32_e32 v10, 0, v10, vcc
	v_mul_f64 v[10:11], v[10:11], v[6:7]
	v_cvt_f32_f64_e32 v10, v[10:11]
	v_sub_f32_e32 v11, v29, v10
	v_cmp_eq_u32_e32 vcc, 16, v0
	v_cndmask_b32_e64 v10, -v10, v11, vcc
	v_add_co_u32_e32 v12, vcc, s14, v18
	v_cvt_f64_f32_e32 v[10:11], v10
	v_addc_co_u32_e32 v13, vcc, v3, v19, vcc
	global_store_dwordx2 v[12:13], v[10:11], off
	s_waitcnt vmcnt(4)
	v_mul_f64 v[10:11], v[20:21], s[34:35]
	v_rndne_f64_e32 v[18:19], v[10:11]
	v_fma_f64 v[22:23], s[30:31], v[18:19], v[20:21]
	v_fmac_f64_e32 v[22:23], s[6:7], v[18:19]
	v_fma_f64 v[10:11], s[8:9], v[22:23], v[4:5]
	v_fma_f64 v[10:11], v[22:23], v[10:11], s[10:11]
	;; [unrolled: 1-line block ×9, first 2 shown]
	v_add_u32_e32 v10, 0x28814, v2
	v_ashrrev_i32_e32 v11, 31, v10
	v_lshlrev_b64 v[10:11], 3, v[10:11]
	v_add_co_u32_e32 v12, vcc, s16, v10
	v_addc_co_u32_e32 v13, vcc, v1, v11, vcc
	global_load_dwordx2 v[12:13], v[12:13], off
	v_fma_f64 v[24:25], v[22:23], v[24:25], 1.0
	v_fma_f64 v[22:23], v[22:23], v[24:25], 1.0
	v_cvt_i32_f64_e32 v18, v[18:19]
	v_ldexp_f64 v[18:19], v[22:23], v18
	v_cmp_nlt_f64_e32 vcc, s[2:3], v[20:21]
	v_cmp_ngt_f64_e64 s[0:1], s[4:5], v[20:21]
	v_cndmask_b32_e32 v19, v28, v19, vcc
	s_and_b64 vcc, s[0:1], vcc
	v_cndmask_b32_e64 v19, 0, v19, s[0:1]
	v_cndmask_b32_e32 v18, 0, v18, vcc
	v_mul_f64 v[18:19], v[18:19], v[6:7]
	v_cvt_f32_f64_e32 v18, v[18:19]
	v_sub_f32_e32 v19, v29, v18
	v_cmp_eq_u32_e32 vcc, 17, v0
	v_cndmask_b32_e64 v18, -v18, v19, vcc
	v_add_co_u32_e32 v16, vcc, s14, v16
	v_cvt_f64_f32_e32 v[18:19], v18
	v_addc_co_u32_e32 v17, vcc, v3, v17, vcc
	global_store_dwordx2 v[16:17], v[18:19], off
	v_add_u32_e32 v18, 0x2aa30, v2
	v_ashrrev_i32_e32 v19, 31, v18
	v_lshlrev_b64 v[18:19], 3, v[18:19]
	v_add_co_u32_e32 v22, vcc, s16, v18
	v_addc_co_u32_e32 v23, vcc, v1, v19, vcc
	s_waitcnt vmcnt(4)
	v_mul_f64 v[16:17], v[14:15], s[34:35]
	global_load_dwordx2 v[22:23], v[22:23], off
	v_rndne_f64_e32 v[16:17], v[16:17]
	v_fma_f64 v[20:21], s[30:31], v[16:17], v[14:15]
	v_fmac_f64_e32 v[20:21], s[6:7], v[16:17]
	v_fma_f64 v[24:25], s[8:9], v[20:21], v[4:5]
	v_fma_f64 v[24:25], v[20:21], v[24:25], s[10:11]
	;; [unrolled: 1-line block ×9, first 2 shown]
	v_fma_f64 v[24:25], v[20:21], v[24:25], 1.0
	v_fma_f64 v[20:21], v[20:21], v[24:25], 1.0
	v_cvt_i32_f64_e32 v16, v[16:17]
	v_ldexp_f64 v[16:17], v[20:21], v16
	v_cmp_nlt_f64_e32 vcc, s[2:3], v[14:15]
	v_cmp_ngt_f64_e64 s[0:1], s[4:5], v[14:15]
	v_cndmask_b32_e32 v17, v28, v17, vcc
	s_and_b64 vcc, s[0:1], vcc
	v_cndmask_b32_e64 v15, 0, v17, s[0:1]
	v_cndmask_b32_e32 v14, 0, v16, vcc
	v_mul_f64 v[14:15], v[14:15], v[6:7]
	v_add_u32_e32 v16, 0x2cc4c, v2
	v_cvt_f32_f64_e32 v14, v[14:15]
	v_ashrrev_i32_e32 v17, 31, v16
	v_sub_f32_e32 v15, v29, v14
	v_cmp_eq_u32_e32 vcc, 18, v0
	v_lshlrev_b64 v[16:17], 3, v[16:17]
	v_cndmask_b32_e64 v14, -v14, v15, vcc
	v_add_co_u32_e32 v20, vcc, s16, v16
	v_addc_co_u32_e32 v21, vcc, v1, v17, vcc
	global_load_dwordx2 v[20:21], v[20:21], off
	v_add_co_u32_e32 v8, vcc, s14, v8
	v_cvt_f64_f32_e32 v[14:15], v14
	v_addc_co_u32_e32 v9, vcc, v3, v9, vcc
	global_store_dwordx2 v[8:9], v[14:15], off
	v_add_u32_e32 v8, 0x2ee68, v2
	v_ashrrev_i32_e32 v9, 31, v8
	v_lshlrev_b64 v[8:9], 3, v[8:9]
	v_add_co_u32_e32 v14, vcc, s16, v8
	v_addc_co_u32_e32 v15, vcc, v1, v9, vcc
	global_load_dwordx2 v[14:15], v[14:15], off
	s_waitcnt vmcnt(5)
	v_mul_f64 v[24:25], v[12:13], s[34:35]
	v_rndne_f64_e32 v[24:25], v[24:25]
	v_fma_f64 v[26:27], s[30:31], v[24:25], v[12:13]
	v_fmac_f64_e32 v[26:27], s[6:7], v[24:25]
	v_fma_f64 v[30:31], s[8:9], v[26:27], v[4:5]
	v_fma_f64 v[30:31], v[26:27], v[30:31], s[10:11]
	v_fma_f64 v[30:31], v[26:27], v[30:31], s[12:13]
	v_fma_f64 v[30:31], v[26:27], v[30:31], s[18:19]
	v_fma_f64 v[30:31], v[26:27], v[30:31], s[20:21]
	v_fma_f64 v[30:31], v[26:27], v[30:31], s[22:23]
	v_fma_f64 v[30:31], v[26:27], v[30:31], s[24:25]
	v_fma_f64 v[30:31], v[26:27], v[30:31], s[26:27]
	v_fma_f64 v[30:31], v[26:27], v[30:31], s[28:29]
	v_fma_f64 v[30:31], v[26:27], v[30:31], 1.0
	v_fma_f64 v[26:27], v[26:27], v[30:31], 1.0
	v_cvt_i32_f64_e32 v24, v[24:25]
	v_ldexp_f64 v[24:25], v[26:27], v24
	v_cmp_nlt_f64_e32 vcc, s[2:3], v[12:13]
	v_cmp_ngt_f64_e64 s[0:1], s[4:5], v[12:13]
	v_cndmask_b32_e32 v25, v28, v25, vcc
	s_and_b64 vcc, s[0:1], vcc
	v_cndmask_b32_e64 v13, 0, v25, s[0:1]
	v_cndmask_b32_e32 v12, 0, v24, vcc
	v_mul_f64 v[12:13], v[12:13], v[6:7]
	v_cvt_f32_f64_e32 v12, v[12:13]
	v_sub_f32_e32 v13, v29, v12
	v_cmp_eq_u32_e32 vcc, 19, v0
	v_cndmask_b32_e64 v12, -v12, v13, vcc
	v_add_co_u32_e32 v10, vcc, s14, v10
	v_cvt_f64_f32_e32 v[12:13], v12
	v_addc_co_u32_e32 v11, vcc, v3, v11, vcc
	global_store_dwordx2 v[10:11], v[12:13], off
	s_waitcnt vmcnt(4)
	v_mul_f64 v[10:11], v[22:23], s[34:35]
	v_rndne_f64_e32 v[10:11], v[10:11]
	v_fma_f64 v[12:13], s[30:31], v[10:11], v[22:23]
	v_fmac_f64_e32 v[12:13], s[6:7], v[10:11]
	v_fma_f64 v[24:25], s[8:9], v[12:13], v[4:5]
	v_fma_f64 v[24:25], v[12:13], v[24:25], s[10:11]
	;; [unrolled: 1-line block ×9, first 2 shown]
	v_fma_f64 v[24:25], v[12:13], v[24:25], 1.0
	v_fma_f64 v[12:13], v[12:13], v[24:25], 1.0
	v_cvt_i32_f64_e32 v10, v[10:11]
	v_ldexp_f64 v[10:11], v[12:13], v10
	v_cmp_nlt_f64_e32 vcc, s[2:3], v[22:23]
	v_cmp_ngt_f64_e64 s[0:1], s[4:5], v[22:23]
	v_cndmask_b32_e32 v11, v28, v11, vcc
	s_and_b64 vcc, s[0:1], vcc
	v_cndmask_b32_e64 v11, 0, v11, s[0:1]
	v_cndmask_b32_e32 v10, 0, v10, vcc
	v_mul_f64 v[10:11], v[10:11], v[6:7]
	v_cvt_f32_f64_e32 v10, v[10:11]
	v_sub_f32_e32 v11, v29, v10
	v_cmp_eq_u32_e32 vcc, 20, v0
	v_cndmask_b32_e64 v10, -v10, v11, vcc
	v_add_co_u32_e32 v12, vcc, s14, v18
	v_cvt_f64_f32_e32 v[10:11], v10
	v_addc_co_u32_e32 v13, vcc, v3, v19, vcc
	global_store_dwordx2 v[12:13], v[10:11], off
	s_waitcnt vmcnt(4)
	v_mul_f64 v[10:11], v[20:21], s[34:35]
	v_rndne_f64_e32 v[18:19], v[10:11]
	v_fma_f64 v[22:23], s[30:31], v[18:19], v[20:21]
	v_fmac_f64_e32 v[22:23], s[6:7], v[18:19]
	v_fma_f64 v[10:11], s[8:9], v[22:23], v[4:5]
	v_fma_f64 v[10:11], v[22:23], v[10:11], s[10:11]
	;; [unrolled: 1-line block ×9, first 2 shown]
	v_add_u32_e32 v10, 0x31084, v2
	v_ashrrev_i32_e32 v11, 31, v10
	v_lshlrev_b64 v[10:11], 3, v[10:11]
	v_add_co_u32_e32 v12, vcc, s16, v10
	v_addc_co_u32_e32 v13, vcc, v1, v11, vcc
	global_load_dwordx2 v[12:13], v[12:13], off
	v_fma_f64 v[24:25], v[22:23], v[24:25], 1.0
	v_fma_f64 v[22:23], v[22:23], v[24:25], 1.0
	v_cvt_i32_f64_e32 v18, v[18:19]
	v_ldexp_f64 v[18:19], v[22:23], v18
	v_cmp_nlt_f64_e32 vcc, s[2:3], v[20:21]
	v_cmp_ngt_f64_e64 s[0:1], s[4:5], v[20:21]
	v_cndmask_b32_e32 v19, v28, v19, vcc
	s_and_b64 vcc, s[0:1], vcc
	v_cndmask_b32_e64 v19, 0, v19, s[0:1]
	v_cndmask_b32_e32 v18, 0, v18, vcc
	v_mul_f64 v[18:19], v[18:19], v[6:7]
	v_cvt_f32_f64_e32 v18, v[18:19]
	v_sub_f32_e32 v19, v29, v18
	v_cmp_eq_u32_e32 vcc, 21, v0
	v_cndmask_b32_e64 v18, -v18, v19, vcc
	v_add_co_u32_e32 v16, vcc, s14, v16
	v_cvt_f64_f32_e32 v[18:19], v18
	v_addc_co_u32_e32 v17, vcc, v3, v17, vcc
	global_store_dwordx2 v[16:17], v[18:19], off
	v_add_u32_e32 v18, 0x332a0, v2
	v_ashrrev_i32_e32 v19, 31, v18
	v_lshlrev_b64 v[18:19], 3, v[18:19]
	v_add_co_u32_e32 v22, vcc, s16, v18
	v_addc_co_u32_e32 v23, vcc, v1, v19, vcc
	s_waitcnt vmcnt(4)
	v_mul_f64 v[16:17], v[14:15], s[34:35]
	global_load_dwordx2 v[22:23], v[22:23], off
	v_rndne_f64_e32 v[16:17], v[16:17]
	v_fma_f64 v[20:21], s[30:31], v[16:17], v[14:15]
	v_fmac_f64_e32 v[20:21], s[6:7], v[16:17]
	v_fma_f64 v[24:25], s[8:9], v[20:21], v[4:5]
	v_fma_f64 v[24:25], v[20:21], v[24:25], s[10:11]
	;; [unrolled: 1-line block ×9, first 2 shown]
	v_fma_f64 v[24:25], v[20:21], v[24:25], 1.0
	v_fma_f64 v[20:21], v[20:21], v[24:25], 1.0
	v_cvt_i32_f64_e32 v16, v[16:17]
	v_ldexp_f64 v[16:17], v[20:21], v16
	v_cmp_nlt_f64_e32 vcc, s[2:3], v[14:15]
	v_cmp_ngt_f64_e64 s[0:1], s[4:5], v[14:15]
	v_cndmask_b32_e32 v17, v28, v17, vcc
	s_and_b64 vcc, s[0:1], vcc
	v_cndmask_b32_e64 v15, 0, v17, s[0:1]
	v_cndmask_b32_e32 v14, 0, v16, vcc
	v_mul_f64 v[14:15], v[14:15], v[6:7]
	v_add_u32_e32 v16, 0x354bc, v2
	v_cvt_f32_f64_e32 v14, v[14:15]
	v_ashrrev_i32_e32 v17, 31, v16
	v_sub_f32_e32 v15, v29, v14
	v_cmp_eq_u32_e32 vcc, 22, v0
	v_lshlrev_b64 v[16:17], 3, v[16:17]
	v_cndmask_b32_e64 v14, -v14, v15, vcc
	v_add_co_u32_e32 v20, vcc, s16, v16
	v_addc_co_u32_e32 v21, vcc, v1, v17, vcc
	global_load_dwordx2 v[20:21], v[20:21], off
	v_add_co_u32_e32 v8, vcc, s14, v8
	v_cvt_f64_f32_e32 v[14:15], v14
	v_addc_co_u32_e32 v9, vcc, v3, v9, vcc
	global_store_dwordx2 v[8:9], v[14:15], off
	v_add_u32_e32 v8, 0x376d8, v2
	v_ashrrev_i32_e32 v9, 31, v8
	v_lshlrev_b64 v[8:9], 3, v[8:9]
	v_add_co_u32_e32 v14, vcc, s16, v8
	v_addc_co_u32_e32 v15, vcc, v1, v9, vcc
	global_load_dwordx2 v[14:15], v[14:15], off
	s_waitcnt vmcnt(5)
	v_mul_f64 v[24:25], v[12:13], s[34:35]
	v_rndne_f64_e32 v[24:25], v[24:25]
	v_fma_f64 v[26:27], s[30:31], v[24:25], v[12:13]
	v_fmac_f64_e32 v[26:27], s[6:7], v[24:25]
	v_fma_f64 v[30:31], s[8:9], v[26:27], v[4:5]
	v_fma_f64 v[30:31], v[26:27], v[30:31], s[10:11]
	v_fma_f64 v[30:31], v[26:27], v[30:31], s[12:13]
	v_fma_f64 v[30:31], v[26:27], v[30:31], s[18:19]
	v_fma_f64 v[30:31], v[26:27], v[30:31], s[20:21]
	v_fma_f64 v[30:31], v[26:27], v[30:31], s[22:23]
	v_fma_f64 v[30:31], v[26:27], v[30:31], s[24:25]
	v_fma_f64 v[30:31], v[26:27], v[30:31], s[26:27]
	v_fma_f64 v[30:31], v[26:27], v[30:31], s[28:29]
	v_fma_f64 v[30:31], v[26:27], v[30:31], 1.0
	v_fma_f64 v[26:27], v[26:27], v[30:31], 1.0
	v_cvt_i32_f64_e32 v24, v[24:25]
	v_ldexp_f64 v[24:25], v[26:27], v24
	v_cmp_nlt_f64_e32 vcc, s[2:3], v[12:13]
	v_cmp_ngt_f64_e64 s[0:1], s[4:5], v[12:13]
	v_cndmask_b32_e32 v25, v28, v25, vcc
	s_and_b64 vcc, s[0:1], vcc
	v_cndmask_b32_e64 v13, 0, v25, s[0:1]
	v_cndmask_b32_e32 v12, 0, v24, vcc
	v_mul_f64 v[12:13], v[12:13], v[6:7]
	v_cvt_f32_f64_e32 v12, v[12:13]
	v_sub_f32_e32 v13, v29, v12
	v_cmp_eq_u32_e32 vcc, 23, v0
	v_cndmask_b32_e64 v12, -v12, v13, vcc
	v_add_co_u32_e32 v10, vcc, s14, v10
	v_cvt_f64_f32_e32 v[12:13], v12
	v_addc_co_u32_e32 v11, vcc, v3, v11, vcc
	global_store_dwordx2 v[10:11], v[12:13], off
	s_waitcnt vmcnt(4)
	v_mul_f64 v[10:11], v[22:23], s[34:35]
	v_rndne_f64_e32 v[10:11], v[10:11]
	v_fma_f64 v[12:13], s[30:31], v[10:11], v[22:23]
	v_fmac_f64_e32 v[12:13], s[6:7], v[10:11]
	v_fma_f64 v[24:25], s[8:9], v[12:13], v[4:5]
	v_fma_f64 v[24:25], v[12:13], v[24:25], s[10:11]
	;; [unrolled: 1-line block ×9, first 2 shown]
	v_fma_f64 v[24:25], v[12:13], v[24:25], 1.0
	v_fma_f64 v[12:13], v[12:13], v[24:25], 1.0
	v_cvt_i32_f64_e32 v10, v[10:11]
	v_ldexp_f64 v[10:11], v[12:13], v10
	v_cmp_nlt_f64_e32 vcc, s[2:3], v[22:23]
	v_cmp_ngt_f64_e64 s[0:1], s[4:5], v[22:23]
	v_cndmask_b32_e32 v11, v28, v11, vcc
	s_and_b64 vcc, s[0:1], vcc
	v_cndmask_b32_e64 v11, 0, v11, s[0:1]
	v_cndmask_b32_e32 v10, 0, v10, vcc
	v_mul_f64 v[10:11], v[10:11], v[6:7]
	v_cvt_f32_f64_e32 v10, v[10:11]
	v_sub_f32_e32 v11, v29, v10
	v_cmp_eq_u32_e32 vcc, 24, v0
	v_cndmask_b32_e64 v10, -v10, v11, vcc
	v_add_co_u32_e32 v12, vcc, s14, v18
	v_cvt_f64_f32_e32 v[10:11], v10
	v_addc_co_u32_e32 v13, vcc, v3, v19, vcc
	global_store_dwordx2 v[12:13], v[10:11], off
	s_waitcnt vmcnt(4)
	v_mul_f64 v[10:11], v[20:21], s[34:35]
	v_rndne_f64_e32 v[18:19], v[10:11]
	v_fma_f64 v[22:23], s[30:31], v[18:19], v[20:21]
	v_fmac_f64_e32 v[22:23], s[6:7], v[18:19]
	v_fma_f64 v[10:11], s[8:9], v[22:23], v[4:5]
	v_fma_f64 v[10:11], v[22:23], v[10:11], s[10:11]
	;; [unrolled: 1-line block ×9, first 2 shown]
	v_add_u32_e32 v10, 0x398f4, v2
	v_ashrrev_i32_e32 v11, 31, v10
	v_lshlrev_b64 v[10:11], 3, v[10:11]
	v_add_co_u32_e32 v12, vcc, s16, v10
	v_addc_co_u32_e32 v13, vcc, v1, v11, vcc
	global_load_dwordx2 v[12:13], v[12:13], off
	v_fma_f64 v[24:25], v[22:23], v[24:25], 1.0
	v_fma_f64 v[22:23], v[22:23], v[24:25], 1.0
	v_cvt_i32_f64_e32 v18, v[18:19]
	v_ldexp_f64 v[18:19], v[22:23], v18
	v_cmp_nlt_f64_e32 vcc, s[2:3], v[20:21]
	v_cmp_ngt_f64_e64 s[0:1], s[4:5], v[20:21]
	v_cndmask_b32_e32 v19, v28, v19, vcc
	s_and_b64 vcc, s[0:1], vcc
	v_cndmask_b32_e64 v19, 0, v19, s[0:1]
	v_cndmask_b32_e32 v18, 0, v18, vcc
	v_mul_f64 v[18:19], v[18:19], v[6:7]
	v_cvt_f32_f64_e32 v18, v[18:19]
	v_sub_f32_e32 v19, v29, v18
	v_cmp_eq_u32_e32 vcc, 25, v0
	v_cndmask_b32_e64 v18, -v18, v19, vcc
	v_add_co_u32_e32 v16, vcc, s14, v16
	v_cvt_f64_f32_e32 v[18:19], v18
	v_addc_co_u32_e32 v17, vcc, v3, v17, vcc
	global_store_dwordx2 v[16:17], v[18:19], off
	v_add_u32_e32 v18, 0x3bb10, v2
	v_ashrrev_i32_e32 v19, 31, v18
	v_lshlrev_b64 v[18:19], 3, v[18:19]
	v_add_co_u32_e32 v22, vcc, s16, v18
	v_addc_co_u32_e32 v23, vcc, v1, v19, vcc
	s_waitcnt vmcnt(4)
	v_mul_f64 v[16:17], v[14:15], s[34:35]
	global_load_dwordx2 v[22:23], v[22:23], off
	v_rndne_f64_e32 v[16:17], v[16:17]
	v_fma_f64 v[20:21], s[30:31], v[16:17], v[14:15]
	v_fmac_f64_e32 v[20:21], s[6:7], v[16:17]
	v_fma_f64 v[24:25], s[8:9], v[20:21], v[4:5]
	v_fma_f64 v[24:25], v[20:21], v[24:25], s[10:11]
	;; [unrolled: 1-line block ×9, first 2 shown]
	v_fma_f64 v[24:25], v[20:21], v[24:25], 1.0
	v_fma_f64 v[20:21], v[20:21], v[24:25], 1.0
	v_cvt_i32_f64_e32 v16, v[16:17]
	v_ldexp_f64 v[16:17], v[20:21], v16
	v_cmp_nlt_f64_e32 vcc, s[2:3], v[14:15]
	v_cmp_ngt_f64_e64 s[0:1], s[4:5], v[14:15]
	v_cndmask_b32_e32 v17, v28, v17, vcc
	s_and_b64 vcc, s[0:1], vcc
	v_cndmask_b32_e64 v15, 0, v17, s[0:1]
	v_cndmask_b32_e32 v14, 0, v16, vcc
	v_mul_f64 v[14:15], v[14:15], v[6:7]
	v_add_u32_e32 v16, 0x3dd2c, v2
	v_cvt_f32_f64_e32 v14, v[14:15]
	v_ashrrev_i32_e32 v17, 31, v16
	v_sub_f32_e32 v15, v29, v14
	v_cmp_eq_u32_e32 vcc, 26, v0
	v_lshlrev_b64 v[16:17], 3, v[16:17]
	v_cndmask_b32_e64 v14, -v14, v15, vcc
	v_add_co_u32_e32 v20, vcc, s16, v16
	v_addc_co_u32_e32 v21, vcc, v1, v17, vcc
	global_load_dwordx2 v[20:21], v[20:21], off
	v_add_co_u32_e32 v8, vcc, s14, v8
	v_cvt_f64_f32_e32 v[14:15], v14
	v_addc_co_u32_e32 v9, vcc, v3, v9, vcc
	global_store_dwordx2 v[8:9], v[14:15], off
	v_add_u32_e32 v8, 0x3ff48, v2
	v_ashrrev_i32_e32 v9, 31, v8
	v_lshlrev_b64 v[8:9], 3, v[8:9]
	v_add_co_u32_e32 v14, vcc, s16, v8
	v_addc_co_u32_e32 v15, vcc, v1, v9, vcc
	global_load_dwordx2 v[14:15], v[14:15], off
	s_waitcnt vmcnt(5)
	v_mul_f64 v[24:25], v[12:13], s[34:35]
	v_rndne_f64_e32 v[24:25], v[24:25]
	v_fma_f64 v[26:27], s[30:31], v[24:25], v[12:13]
	v_fmac_f64_e32 v[26:27], s[6:7], v[24:25]
	v_fma_f64 v[30:31], s[8:9], v[26:27], v[4:5]
	v_fma_f64 v[30:31], v[26:27], v[30:31], s[10:11]
	;; [unrolled: 1-line block ×9, first 2 shown]
	v_fma_f64 v[30:31], v[26:27], v[30:31], 1.0
	v_fma_f64 v[26:27], v[26:27], v[30:31], 1.0
	v_cvt_i32_f64_e32 v24, v[24:25]
	v_ldexp_f64 v[24:25], v[26:27], v24
	v_cmp_nlt_f64_e32 vcc, s[2:3], v[12:13]
	v_cmp_ngt_f64_e64 s[0:1], s[4:5], v[12:13]
	v_cndmask_b32_e32 v25, v28, v25, vcc
	s_and_b64 vcc, s[0:1], vcc
	v_cndmask_b32_e64 v13, 0, v25, s[0:1]
	v_cndmask_b32_e32 v12, 0, v24, vcc
	v_mul_f64 v[12:13], v[12:13], v[6:7]
	v_cvt_f32_f64_e32 v12, v[12:13]
	v_sub_f32_e32 v13, v29, v12
	v_cmp_eq_u32_e32 vcc, 27, v0
	v_cndmask_b32_e64 v12, -v12, v13, vcc
	v_add_co_u32_e32 v10, vcc, s14, v10
	v_cvt_f64_f32_e32 v[12:13], v12
	v_addc_co_u32_e32 v11, vcc, v3, v11, vcc
	global_store_dwordx2 v[10:11], v[12:13], off
	s_waitcnt vmcnt(4)
	v_mul_f64 v[10:11], v[22:23], s[34:35]
	v_rndne_f64_e32 v[10:11], v[10:11]
	v_fma_f64 v[12:13], s[30:31], v[10:11], v[22:23]
	v_fmac_f64_e32 v[12:13], s[6:7], v[10:11]
	v_fma_f64 v[24:25], s[8:9], v[12:13], v[4:5]
	v_fma_f64 v[24:25], v[12:13], v[24:25], s[10:11]
	;; [unrolled: 1-line block ×9, first 2 shown]
	v_fma_f64 v[24:25], v[12:13], v[24:25], 1.0
	v_fma_f64 v[12:13], v[12:13], v[24:25], 1.0
	v_cvt_i32_f64_e32 v10, v[10:11]
	v_ldexp_f64 v[10:11], v[12:13], v10
	v_cmp_nlt_f64_e32 vcc, s[2:3], v[22:23]
	v_cmp_ngt_f64_e64 s[0:1], s[4:5], v[22:23]
	v_cndmask_b32_e32 v11, v28, v11, vcc
	s_and_b64 vcc, s[0:1], vcc
	v_cndmask_b32_e64 v11, 0, v11, s[0:1]
	v_cndmask_b32_e32 v10, 0, v10, vcc
	v_mul_f64 v[10:11], v[10:11], v[6:7]
	v_cvt_f32_f64_e32 v10, v[10:11]
	v_sub_f32_e32 v11, v29, v10
	v_cmp_eq_u32_e32 vcc, 28, v0
	v_cndmask_b32_e64 v10, -v10, v11, vcc
	v_add_co_u32_e32 v12, vcc, s14, v18
	v_cvt_f64_f32_e32 v[10:11], v10
	v_addc_co_u32_e32 v13, vcc, v3, v19, vcc
	global_store_dwordx2 v[12:13], v[10:11], off
	s_waitcnt vmcnt(4)
	v_mul_f64 v[10:11], v[20:21], s[34:35]
	v_rndne_f64_e32 v[18:19], v[10:11]
	v_fma_f64 v[22:23], s[30:31], v[18:19], v[20:21]
	v_fmac_f64_e32 v[22:23], s[6:7], v[18:19]
	v_fma_f64 v[10:11], s[8:9], v[22:23], v[4:5]
	v_fma_f64 v[10:11], v[22:23], v[10:11], s[10:11]
	;; [unrolled: 1-line block ×9, first 2 shown]
	v_add_u32_e32 v10, 0x42164, v2
	v_ashrrev_i32_e32 v11, 31, v10
	v_lshlrev_b64 v[10:11], 3, v[10:11]
	v_add_co_u32_e32 v12, vcc, s16, v10
	v_addc_co_u32_e32 v13, vcc, v1, v11, vcc
	global_load_dwordx2 v[12:13], v[12:13], off
	v_fma_f64 v[24:25], v[22:23], v[24:25], 1.0
	v_fma_f64 v[22:23], v[22:23], v[24:25], 1.0
	v_cvt_i32_f64_e32 v18, v[18:19]
	v_ldexp_f64 v[18:19], v[22:23], v18
	v_cmp_nlt_f64_e32 vcc, s[2:3], v[20:21]
	v_cmp_ngt_f64_e64 s[0:1], s[4:5], v[20:21]
	v_cndmask_b32_e32 v19, v28, v19, vcc
	s_and_b64 vcc, s[0:1], vcc
	v_cndmask_b32_e64 v19, 0, v19, s[0:1]
	v_cndmask_b32_e32 v18, 0, v18, vcc
	v_mul_f64 v[18:19], v[18:19], v[6:7]
	v_cvt_f32_f64_e32 v18, v[18:19]
	v_sub_f32_e32 v19, v29, v18
	v_cmp_eq_u32_e32 vcc, 29, v0
	v_cndmask_b32_e64 v18, -v18, v19, vcc
	v_add_co_u32_e32 v16, vcc, s14, v16
	v_cvt_f64_f32_e32 v[18:19], v18
	v_addc_co_u32_e32 v17, vcc, v3, v17, vcc
	global_store_dwordx2 v[16:17], v[18:19], off
	v_add_u32_e32 v18, 0x44380, v2
	v_ashrrev_i32_e32 v19, 31, v18
	v_lshlrev_b64 v[18:19], 3, v[18:19]
	v_add_co_u32_e32 v22, vcc, s16, v18
	v_addc_co_u32_e32 v23, vcc, v1, v19, vcc
	s_waitcnt vmcnt(4)
	v_mul_f64 v[16:17], v[14:15], s[34:35]
	global_load_dwordx2 v[22:23], v[22:23], off
	v_rndne_f64_e32 v[16:17], v[16:17]
	v_fma_f64 v[20:21], s[30:31], v[16:17], v[14:15]
	v_fmac_f64_e32 v[20:21], s[6:7], v[16:17]
	v_fma_f64 v[24:25], s[8:9], v[20:21], v[4:5]
	v_fma_f64 v[24:25], v[20:21], v[24:25], s[10:11]
	;; [unrolled: 1-line block ×9, first 2 shown]
	v_fma_f64 v[24:25], v[20:21], v[24:25], 1.0
	v_fma_f64 v[20:21], v[20:21], v[24:25], 1.0
	v_cvt_i32_f64_e32 v16, v[16:17]
	v_ldexp_f64 v[16:17], v[20:21], v16
	v_cmp_nlt_f64_e32 vcc, s[2:3], v[14:15]
	v_cmp_ngt_f64_e64 s[0:1], s[4:5], v[14:15]
	v_cndmask_b32_e32 v17, v28, v17, vcc
	s_and_b64 vcc, s[0:1], vcc
	v_cndmask_b32_e64 v15, 0, v17, s[0:1]
	v_cndmask_b32_e32 v14, 0, v16, vcc
	v_mul_f64 v[14:15], v[14:15], v[6:7]
	v_add_u32_e32 v16, 0x4659c, v2
	v_cvt_f32_f64_e32 v14, v[14:15]
	v_ashrrev_i32_e32 v17, 31, v16
	v_sub_f32_e32 v15, v29, v14
	v_cmp_eq_u32_e32 vcc, 30, v0
	v_lshlrev_b64 v[16:17], 3, v[16:17]
	v_cndmask_b32_e64 v14, -v14, v15, vcc
	v_add_co_u32_e32 v20, vcc, s16, v16
	v_addc_co_u32_e32 v21, vcc, v1, v17, vcc
	global_load_dwordx2 v[20:21], v[20:21], off
	v_add_co_u32_e32 v8, vcc, s14, v8
	v_cvt_f64_f32_e32 v[14:15], v14
	v_addc_co_u32_e32 v9, vcc, v3, v9, vcc
	global_store_dwordx2 v[8:9], v[14:15], off
	v_add_u32_e32 v8, 0x487b8, v2
	v_ashrrev_i32_e32 v9, 31, v8
	v_lshlrev_b64 v[8:9], 3, v[8:9]
	v_add_co_u32_e32 v14, vcc, s16, v8
	v_addc_co_u32_e32 v15, vcc, v1, v9, vcc
	global_load_dwordx2 v[14:15], v[14:15], off
	s_waitcnt vmcnt(5)
	v_mul_f64 v[24:25], v[12:13], s[34:35]
	v_rndne_f64_e32 v[24:25], v[24:25]
	v_fma_f64 v[26:27], s[30:31], v[24:25], v[12:13]
	v_fmac_f64_e32 v[26:27], s[6:7], v[24:25]
	v_fma_f64 v[30:31], s[8:9], v[26:27], v[4:5]
	v_fma_f64 v[30:31], v[26:27], v[30:31], s[10:11]
	;; [unrolled: 1-line block ×9, first 2 shown]
	v_fma_f64 v[30:31], v[26:27], v[30:31], 1.0
	v_fma_f64 v[26:27], v[26:27], v[30:31], 1.0
	v_cvt_i32_f64_e32 v24, v[24:25]
	v_ldexp_f64 v[24:25], v[26:27], v24
	v_cmp_nlt_f64_e32 vcc, s[2:3], v[12:13]
	v_cmp_ngt_f64_e64 s[0:1], s[4:5], v[12:13]
	v_cndmask_b32_e32 v25, v28, v25, vcc
	s_and_b64 vcc, s[0:1], vcc
	v_cndmask_b32_e64 v13, 0, v25, s[0:1]
	v_cndmask_b32_e32 v12, 0, v24, vcc
	v_mul_f64 v[12:13], v[12:13], v[6:7]
	v_cvt_f32_f64_e32 v12, v[12:13]
	v_sub_f32_e32 v13, v29, v12
	v_cmp_eq_u32_e32 vcc, 31, v0
	v_cndmask_b32_e64 v12, -v12, v13, vcc
	v_add_co_u32_e32 v10, vcc, s14, v10
	v_cvt_f64_f32_e32 v[12:13], v12
	v_addc_co_u32_e32 v11, vcc, v3, v11, vcc
	global_store_dwordx2 v[10:11], v[12:13], off
	s_waitcnt vmcnt(4)
	v_mul_f64 v[10:11], v[22:23], s[34:35]
	v_rndne_f64_e32 v[10:11], v[10:11]
	v_fma_f64 v[12:13], s[30:31], v[10:11], v[22:23]
	v_fmac_f64_e32 v[12:13], s[6:7], v[10:11]
	v_fma_f64 v[24:25], s[8:9], v[12:13], v[4:5]
	v_fma_f64 v[24:25], v[12:13], v[24:25], s[10:11]
	v_fma_f64 v[24:25], v[12:13], v[24:25], s[12:13]
	v_fma_f64 v[24:25], v[12:13], v[24:25], s[18:19]
	v_fma_f64 v[24:25], v[12:13], v[24:25], s[20:21]
	v_fma_f64 v[24:25], v[12:13], v[24:25], s[22:23]
	v_fma_f64 v[24:25], v[12:13], v[24:25], s[24:25]
	v_fma_f64 v[24:25], v[12:13], v[24:25], s[26:27]
	v_fma_f64 v[24:25], v[12:13], v[24:25], s[28:29]
	v_fma_f64 v[24:25], v[12:13], v[24:25], 1.0
	v_fma_f64 v[12:13], v[12:13], v[24:25], 1.0
	v_cvt_i32_f64_e32 v10, v[10:11]
	v_ldexp_f64 v[10:11], v[12:13], v10
	v_cmp_nlt_f64_e32 vcc, s[2:3], v[22:23]
	v_cmp_ngt_f64_e64 s[0:1], s[4:5], v[22:23]
	v_cndmask_b32_e32 v11, v28, v11, vcc
	s_and_b64 vcc, s[0:1], vcc
	v_cndmask_b32_e64 v11, 0, v11, s[0:1]
	v_cndmask_b32_e32 v10, 0, v10, vcc
	v_mul_f64 v[10:11], v[10:11], v[6:7]
	v_cvt_f32_f64_e32 v10, v[10:11]
	v_sub_f32_e32 v11, v29, v10
	v_cmp_eq_u32_e32 vcc, 32, v0
	v_cndmask_b32_e64 v10, -v10, v11, vcc
	v_add_co_u32_e32 v12, vcc, s14, v18
	v_cvt_f64_f32_e32 v[10:11], v10
	v_addc_co_u32_e32 v13, vcc, v3, v19, vcc
	global_store_dwordx2 v[12:13], v[10:11], off
	s_waitcnt vmcnt(4)
	v_mul_f64 v[10:11], v[20:21], s[34:35]
	v_rndne_f64_e32 v[18:19], v[10:11]
	v_fma_f64 v[22:23], s[30:31], v[18:19], v[20:21]
	v_fmac_f64_e32 v[22:23], s[6:7], v[18:19]
	v_fma_f64 v[10:11], s[8:9], v[22:23], v[4:5]
	v_fma_f64 v[10:11], v[22:23], v[10:11], s[10:11]
	v_fma_f64 v[10:11], v[22:23], v[10:11], s[12:13]
	v_fma_f64 v[10:11], v[22:23], v[10:11], s[18:19]
	v_fma_f64 v[10:11], v[22:23], v[10:11], s[20:21]
	v_fma_f64 v[10:11], v[22:23], v[10:11], s[22:23]
	v_fma_f64 v[10:11], v[22:23], v[10:11], s[24:25]
	v_fma_f64 v[10:11], v[22:23], v[10:11], s[26:27]
	v_fma_f64 v[24:25], v[22:23], v[10:11], s[28:29]
	v_add_u32_e32 v10, 0x4a9d4, v2
	v_ashrrev_i32_e32 v11, 31, v10
	v_lshlrev_b64 v[10:11], 3, v[10:11]
	v_add_co_u32_e32 v12, vcc, s16, v10
	v_addc_co_u32_e32 v13, vcc, v1, v11, vcc
	global_load_dwordx2 v[12:13], v[12:13], off
	v_fma_f64 v[24:25], v[22:23], v[24:25], 1.0
	v_fma_f64 v[22:23], v[22:23], v[24:25], 1.0
	v_cvt_i32_f64_e32 v18, v[18:19]
	v_ldexp_f64 v[18:19], v[22:23], v18
	v_cmp_nlt_f64_e32 vcc, s[2:3], v[20:21]
	v_cmp_ngt_f64_e64 s[0:1], s[4:5], v[20:21]
	v_cndmask_b32_e32 v19, v28, v19, vcc
	s_and_b64 vcc, s[0:1], vcc
	v_cndmask_b32_e64 v19, 0, v19, s[0:1]
	v_cndmask_b32_e32 v18, 0, v18, vcc
	v_mul_f64 v[18:19], v[18:19], v[6:7]
	v_cvt_f32_f64_e32 v18, v[18:19]
	v_sub_f32_e32 v19, v29, v18
	v_cmp_eq_u32_e32 vcc, 33, v0
	v_cndmask_b32_e64 v18, -v18, v19, vcc
	v_add_co_u32_e32 v16, vcc, s14, v16
	v_cvt_f64_f32_e32 v[18:19], v18
	v_addc_co_u32_e32 v17, vcc, v3, v17, vcc
	global_store_dwordx2 v[16:17], v[18:19], off
	v_add_u32_e32 v18, 0x4cbf0, v2
	v_ashrrev_i32_e32 v19, 31, v18
	v_lshlrev_b64 v[18:19], 3, v[18:19]
	v_add_co_u32_e32 v22, vcc, s16, v18
	v_addc_co_u32_e32 v23, vcc, v1, v19, vcc
	s_waitcnt vmcnt(4)
	v_mul_f64 v[16:17], v[14:15], s[34:35]
	global_load_dwordx2 v[22:23], v[22:23], off
	v_rndne_f64_e32 v[16:17], v[16:17]
	v_fma_f64 v[20:21], s[30:31], v[16:17], v[14:15]
	v_fmac_f64_e32 v[20:21], s[6:7], v[16:17]
	v_fma_f64 v[24:25], s[8:9], v[20:21], v[4:5]
	v_fma_f64 v[24:25], v[20:21], v[24:25], s[10:11]
	;; [unrolled: 1-line block ×9, first 2 shown]
	v_fma_f64 v[24:25], v[20:21], v[24:25], 1.0
	v_fma_f64 v[20:21], v[20:21], v[24:25], 1.0
	v_cvt_i32_f64_e32 v16, v[16:17]
	v_ldexp_f64 v[16:17], v[20:21], v16
	v_cmp_nlt_f64_e32 vcc, s[2:3], v[14:15]
	v_cmp_ngt_f64_e64 s[0:1], s[4:5], v[14:15]
	v_cndmask_b32_e32 v17, v28, v17, vcc
	s_and_b64 vcc, s[0:1], vcc
	v_cndmask_b32_e64 v15, 0, v17, s[0:1]
	v_cndmask_b32_e32 v14, 0, v16, vcc
	v_mul_f64 v[14:15], v[14:15], v[6:7]
	v_add_u32_e32 v16, 0x4ee0c, v2
	v_cvt_f32_f64_e32 v14, v[14:15]
	v_ashrrev_i32_e32 v17, 31, v16
	v_sub_f32_e32 v15, v29, v14
	v_cmp_eq_u32_e32 vcc, 34, v0
	v_lshlrev_b64 v[16:17], 3, v[16:17]
	v_cndmask_b32_e64 v14, -v14, v15, vcc
	v_add_co_u32_e32 v20, vcc, s16, v16
	v_addc_co_u32_e32 v21, vcc, v1, v17, vcc
	global_load_dwordx2 v[20:21], v[20:21], off
	v_add_co_u32_e32 v8, vcc, s14, v8
	v_cvt_f64_f32_e32 v[14:15], v14
	v_addc_co_u32_e32 v9, vcc, v3, v9, vcc
	global_store_dwordx2 v[8:9], v[14:15], off
	v_add_u32_e32 v8, 0x51028, v2
	v_ashrrev_i32_e32 v9, 31, v8
	v_lshlrev_b64 v[8:9], 3, v[8:9]
	v_add_co_u32_e32 v14, vcc, s16, v8
	v_addc_co_u32_e32 v15, vcc, v1, v9, vcc
	global_load_dwordx2 v[14:15], v[14:15], off
	s_waitcnt vmcnt(5)
	v_mul_f64 v[24:25], v[12:13], s[34:35]
	v_rndne_f64_e32 v[24:25], v[24:25]
	v_fma_f64 v[26:27], s[30:31], v[24:25], v[12:13]
	v_fmac_f64_e32 v[26:27], s[6:7], v[24:25]
	v_fma_f64 v[30:31], s[8:9], v[26:27], v[4:5]
	v_fma_f64 v[30:31], v[26:27], v[30:31], s[10:11]
	v_fma_f64 v[30:31], v[26:27], v[30:31], s[12:13]
	v_fma_f64 v[30:31], v[26:27], v[30:31], s[18:19]
	v_fma_f64 v[30:31], v[26:27], v[30:31], s[20:21]
	v_fma_f64 v[30:31], v[26:27], v[30:31], s[22:23]
	v_fma_f64 v[30:31], v[26:27], v[30:31], s[24:25]
	v_fma_f64 v[30:31], v[26:27], v[30:31], s[26:27]
	v_fma_f64 v[30:31], v[26:27], v[30:31], s[28:29]
	v_fma_f64 v[30:31], v[26:27], v[30:31], 1.0
	v_fma_f64 v[26:27], v[26:27], v[30:31], 1.0
	v_cvt_i32_f64_e32 v24, v[24:25]
	v_ldexp_f64 v[24:25], v[26:27], v24
	v_cmp_nlt_f64_e32 vcc, s[2:3], v[12:13]
	v_cmp_ngt_f64_e64 s[0:1], s[4:5], v[12:13]
	v_cndmask_b32_e32 v25, v28, v25, vcc
	s_and_b64 vcc, s[0:1], vcc
	v_cndmask_b32_e64 v13, 0, v25, s[0:1]
	v_cndmask_b32_e32 v12, 0, v24, vcc
	v_mul_f64 v[12:13], v[12:13], v[6:7]
	v_cvt_f32_f64_e32 v12, v[12:13]
	v_sub_f32_e32 v13, v29, v12
	v_cmp_eq_u32_e32 vcc, 35, v0
	v_cndmask_b32_e64 v12, -v12, v13, vcc
	v_add_co_u32_e32 v10, vcc, s14, v10
	v_cvt_f64_f32_e32 v[12:13], v12
	v_addc_co_u32_e32 v11, vcc, v3, v11, vcc
	global_store_dwordx2 v[10:11], v[12:13], off
	s_waitcnt vmcnt(4)
	v_mul_f64 v[10:11], v[22:23], s[34:35]
	v_rndne_f64_e32 v[10:11], v[10:11]
	v_fma_f64 v[12:13], s[30:31], v[10:11], v[22:23]
	v_fmac_f64_e32 v[12:13], s[6:7], v[10:11]
	v_fma_f64 v[24:25], s[8:9], v[12:13], v[4:5]
	v_fma_f64 v[24:25], v[12:13], v[24:25], s[10:11]
	;; [unrolled: 1-line block ×9, first 2 shown]
	v_fma_f64 v[24:25], v[12:13], v[24:25], 1.0
	v_fma_f64 v[12:13], v[12:13], v[24:25], 1.0
	v_cvt_i32_f64_e32 v10, v[10:11]
	v_ldexp_f64 v[10:11], v[12:13], v10
	v_cmp_nlt_f64_e32 vcc, s[2:3], v[22:23]
	v_cmp_ngt_f64_e64 s[0:1], s[4:5], v[22:23]
	v_cndmask_b32_e32 v11, v28, v11, vcc
	s_and_b64 vcc, s[0:1], vcc
	v_cndmask_b32_e64 v11, 0, v11, s[0:1]
	v_cndmask_b32_e32 v10, 0, v10, vcc
	v_mul_f64 v[10:11], v[10:11], v[6:7]
	v_cvt_f32_f64_e32 v10, v[10:11]
	v_sub_f32_e32 v11, v29, v10
	v_cmp_eq_u32_e32 vcc, 36, v0
	v_cndmask_b32_e64 v10, -v10, v11, vcc
	v_add_co_u32_e32 v12, vcc, s14, v18
	v_cvt_f64_f32_e32 v[10:11], v10
	v_addc_co_u32_e32 v13, vcc, v3, v19, vcc
	global_store_dwordx2 v[12:13], v[10:11], off
	s_waitcnt vmcnt(4)
	v_mul_f64 v[10:11], v[20:21], s[34:35]
	v_rndne_f64_e32 v[18:19], v[10:11]
	v_fma_f64 v[22:23], s[30:31], v[18:19], v[20:21]
	v_fmac_f64_e32 v[22:23], s[6:7], v[18:19]
	v_fma_f64 v[10:11], s[8:9], v[22:23], v[4:5]
	v_fma_f64 v[10:11], v[22:23], v[10:11], s[10:11]
	;; [unrolled: 1-line block ×9, first 2 shown]
	v_add_u32_e32 v10, 0x53244, v2
	v_ashrrev_i32_e32 v11, 31, v10
	v_lshlrev_b64 v[10:11], 3, v[10:11]
	v_add_co_u32_e32 v12, vcc, s16, v10
	v_addc_co_u32_e32 v13, vcc, v1, v11, vcc
	global_load_dwordx2 v[12:13], v[12:13], off
	v_fma_f64 v[24:25], v[22:23], v[24:25], 1.0
	v_fma_f64 v[22:23], v[22:23], v[24:25], 1.0
	v_cvt_i32_f64_e32 v18, v[18:19]
	v_ldexp_f64 v[18:19], v[22:23], v18
	v_cmp_nlt_f64_e32 vcc, s[2:3], v[20:21]
	v_cmp_ngt_f64_e64 s[0:1], s[4:5], v[20:21]
	v_cndmask_b32_e32 v19, v28, v19, vcc
	s_and_b64 vcc, s[0:1], vcc
	v_cndmask_b32_e64 v19, 0, v19, s[0:1]
	v_cndmask_b32_e32 v18, 0, v18, vcc
	v_mul_f64 v[18:19], v[18:19], v[6:7]
	v_cvt_f32_f64_e32 v18, v[18:19]
	v_sub_f32_e32 v19, v29, v18
	v_cmp_eq_u32_e32 vcc, 37, v0
	v_cndmask_b32_e64 v18, -v18, v19, vcc
	v_add_co_u32_e32 v16, vcc, s14, v16
	v_cvt_f64_f32_e32 v[18:19], v18
	v_addc_co_u32_e32 v17, vcc, v3, v17, vcc
	global_store_dwordx2 v[16:17], v[18:19], off
	v_add_u32_e32 v18, 0x55460, v2
	v_ashrrev_i32_e32 v19, 31, v18
	v_lshlrev_b64 v[18:19], 3, v[18:19]
	v_add_co_u32_e32 v22, vcc, s16, v18
	v_addc_co_u32_e32 v23, vcc, v1, v19, vcc
	s_waitcnt vmcnt(4)
	v_mul_f64 v[16:17], v[14:15], s[34:35]
	global_load_dwordx2 v[22:23], v[22:23], off
	v_rndne_f64_e32 v[16:17], v[16:17]
	v_fma_f64 v[20:21], s[30:31], v[16:17], v[14:15]
	v_fmac_f64_e32 v[20:21], s[6:7], v[16:17]
	v_fma_f64 v[24:25], s[8:9], v[20:21], v[4:5]
	v_fma_f64 v[24:25], v[20:21], v[24:25], s[10:11]
	;; [unrolled: 1-line block ×9, first 2 shown]
	v_fma_f64 v[24:25], v[20:21], v[24:25], 1.0
	v_fma_f64 v[20:21], v[20:21], v[24:25], 1.0
	v_cvt_i32_f64_e32 v16, v[16:17]
	v_ldexp_f64 v[16:17], v[20:21], v16
	v_cmp_nlt_f64_e32 vcc, s[2:3], v[14:15]
	v_cmp_ngt_f64_e64 s[0:1], s[4:5], v[14:15]
	v_cndmask_b32_e32 v17, v28, v17, vcc
	s_and_b64 vcc, s[0:1], vcc
	v_cndmask_b32_e64 v15, 0, v17, s[0:1]
	v_cndmask_b32_e32 v14, 0, v16, vcc
	v_mul_f64 v[14:15], v[14:15], v[6:7]
	v_add_u32_e32 v16, 0x5767c, v2
	v_cvt_f32_f64_e32 v14, v[14:15]
	v_ashrrev_i32_e32 v17, 31, v16
	v_sub_f32_e32 v15, v29, v14
	v_cmp_eq_u32_e32 vcc, 38, v0
	v_lshlrev_b64 v[16:17], 3, v[16:17]
	v_cndmask_b32_e64 v14, -v14, v15, vcc
	v_add_co_u32_e32 v20, vcc, s16, v16
	v_addc_co_u32_e32 v21, vcc, v1, v17, vcc
	global_load_dwordx2 v[20:21], v[20:21], off
	v_add_co_u32_e32 v8, vcc, s14, v8
	v_cvt_f64_f32_e32 v[14:15], v14
	v_addc_co_u32_e32 v9, vcc, v3, v9, vcc
	global_store_dwordx2 v[8:9], v[14:15], off
	v_add_u32_e32 v8, 0x59898, v2
	v_ashrrev_i32_e32 v9, 31, v8
	v_lshlrev_b64 v[8:9], 3, v[8:9]
	v_add_co_u32_e32 v14, vcc, s16, v8
	v_addc_co_u32_e32 v15, vcc, v1, v9, vcc
	global_load_dwordx2 v[14:15], v[14:15], off
	s_waitcnt vmcnt(5)
	v_mul_f64 v[24:25], v[12:13], s[34:35]
	v_rndne_f64_e32 v[24:25], v[24:25]
	v_fma_f64 v[26:27], s[30:31], v[24:25], v[12:13]
	v_fmac_f64_e32 v[26:27], s[6:7], v[24:25]
	v_fma_f64 v[30:31], s[8:9], v[26:27], v[4:5]
	v_fma_f64 v[30:31], v[26:27], v[30:31], s[10:11]
	;; [unrolled: 1-line block ×9, first 2 shown]
	v_fma_f64 v[30:31], v[26:27], v[30:31], 1.0
	v_fma_f64 v[26:27], v[26:27], v[30:31], 1.0
	v_cvt_i32_f64_e32 v24, v[24:25]
	v_ldexp_f64 v[24:25], v[26:27], v24
	v_cmp_nlt_f64_e32 vcc, s[2:3], v[12:13]
	v_cmp_ngt_f64_e64 s[0:1], s[4:5], v[12:13]
	v_cndmask_b32_e32 v25, v28, v25, vcc
	s_and_b64 vcc, s[0:1], vcc
	v_cndmask_b32_e64 v13, 0, v25, s[0:1]
	v_cndmask_b32_e32 v12, 0, v24, vcc
	v_mul_f64 v[12:13], v[12:13], v[6:7]
	v_cvt_f32_f64_e32 v12, v[12:13]
	v_sub_f32_e32 v13, v29, v12
	v_cmp_eq_u32_e32 vcc, 39, v0
	v_cndmask_b32_e64 v12, -v12, v13, vcc
	v_add_co_u32_e32 v10, vcc, s14, v10
	v_cvt_f64_f32_e32 v[12:13], v12
	v_addc_co_u32_e32 v11, vcc, v3, v11, vcc
	global_store_dwordx2 v[10:11], v[12:13], off
	s_waitcnt vmcnt(4)
	v_mul_f64 v[10:11], v[22:23], s[34:35]
	v_rndne_f64_e32 v[10:11], v[10:11]
	v_fma_f64 v[12:13], s[30:31], v[10:11], v[22:23]
	v_fmac_f64_e32 v[12:13], s[6:7], v[10:11]
	v_fma_f64 v[24:25], s[8:9], v[12:13], v[4:5]
	v_fma_f64 v[24:25], v[12:13], v[24:25], s[10:11]
	;; [unrolled: 1-line block ×9, first 2 shown]
	v_fma_f64 v[24:25], v[12:13], v[24:25], 1.0
	v_fma_f64 v[12:13], v[12:13], v[24:25], 1.0
	v_cvt_i32_f64_e32 v10, v[10:11]
	v_ldexp_f64 v[10:11], v[12:13], v10
	v_cmp_nlt_f64_e32 vcc, s[2:3], v[22:23]
	v_cmp_ngt_f64_e64 s[0:1], s[4:5], v[22:23]
	v_cndmask_b32_e32 v11, v28, v11, vcc
	s_and_b64 vcc, s[0:1], vcc
	v_cndmask_b32_e64 v11, 0, v11, s[0:1]
	v_cndmask_b32_e32 v10, 0, v10, vcc
	v_mul_f64 v[10:11], v[10:11], v[6:7]
	v_cvt_f32_f64_e32 v10, v[10:11]
	v_sub_f32_e32 v11, v29, v10
	v_cmp_eq_u32_e32 vcc, 40, v0
	v_cndmask_b32_e64 v10, -v10, v11, vcc
	v_add_co_u32_e32 v12, vcc, s14, v18
	v_cvt_f64_f32_e32 v[10:11], v10
	v_addc_co_u32_e32 v13, vcc, v3, v19, vcc
	global_store_dwordx2 v[12:13], v[10:11], off
	s_waitcnt vmcnt(4)
	v_mul_f64 v[10:11], v[20:21], s[34:35]
	v_rndne_f64_e32 v[18:19], v[10:11]
	v_fma_f64 v[22:23], s[30:31], v[18:19], v[20:21]
	v_fmac_f64_e32 v[22:23], s[6:7], v[18:19]
	v_fma_f64 v[10:11], s[8:9], v[22:23], v[4:5]
	v_fma_f64 v[10:11], v[22:23], v[10:11], s[10:11]
	;; [unrolled: 1-line block ×9, first 2 shown]
	v_add_u32_e32 v10, 0x5bab4, v2
	v_ashrrev_i32_e32 v11, 31, v10
	v_lshlrev_b64 v[10:11], 3, v[10:11]
	v_add_co_u32_e32 v12, vcc, s16, v10
	v_addc_co_u32_e32 v13, vcc, v1, v11, vcc
	global_load_dwordx2 v[12:13], v[12:13], off
	v_fma_f64 v[24:25], v[22:23], v[24:25], 1.0
	v_fma_f64 v[22:23], v[22:23], v[24:25], 1.0
	v_cvt_i32_f64_e32 v18, v[18:19]
	v_ldexp_f64 v[18:19], v[22:23], v18
	v_cmp_nlt_f64_e32 vcc, s[2:3], v[20:21]
	v_cmp_ngt_f64_e64 s[0:1], s[4:5], v[20:21]
	v_cndmask_b32_e32 v19, v28, v19, vcc
	s_and_b64 vcc, s[0:1], vcc
	v_cndmask_b32_e64 v19, 0, v19, s[0:1]
	v_cndmask_b32_e32 v18, 0, v18, vcc
	v_mul_f64 v[18:19], v[18:19], v[6:7]
	v_cvt_f32_f64_e32 v18, v[18:19]
	v_sub_f32_e32 v19, v29, v18
	v_cmp_eq_u32_e32 vcc, 41, v0
	v_cndmask_b32_e64 v18, -v18, v19, vcc
	v_add_co_u32_e32 v16, vcc, s14, v16
	v_cvt_f64_f32_e32 v[18:19], v18
	v_addc_co_u32_e32 v17, vcc, v3, v17, vcc
	global_store_dwordx2 v[16:17], v[18:19], off
	v_add_u32_e32 v18, 0x5dcd0, v2
	v_ashrrev_i32_e32 v19, 31, v18
	v_lshlrev_b64 v[18:19], 3, v[18:19]
	v_add_co_u32_e32 v22, vcc, s16, v18
	v_addc_co_u32_e32 v23, vcc, v1, v19, vcc
	s_waitcnt vmcnt(4)
	v_mul_f64 v[16:17], v[14:15], s[34:35]
	global_load_dwordx2 v[22:23], v[22:23], off
	v_rndne_f64_e32 v[16:17], v[16:17]
	v_fma_f64 v[20:21], s[30:31], v[16:17], v[14:15]
	v_fmac_f64_e32 v[20:21], s[6:7], v[16:17]
	v_fma_f64 v[24:25], s[8:9], v[20:21], v[4:5]
	v_fma_f64 v[24:25], v[20:21], v[24:25], s[10:11]
	;; [unrolled: 1-line block ×9, first 2 shown]
	v_fma_f64 v[24:25], v[20:21], v[24:25], 1.0
	v_fma_f64 v[20:21], v[20:21], v[24:25], 1.0
	v_cvt_i32_f64_e32 v16, v[16:17]
	v_ldexp_f64 v[16:17], v[20:21], v16
	v_cmp_nlt_f64_e32 vcc, s[2:3], v[14:15]
	v_cmp_ngt_f64_e64 s[0:1], s[4:5], v[14:15]
	v_cndmask_b32_e32 v17, v28, v17, vcc
	s_and_b64 vcc, s[0:1], vcc
	v_cndmask_b32_e64 v15, 0, v17, s[0:1]
	v_cndmask_b32_e32 v14, 0, v16, vcc
	v_mul_f64 v[14:15], v[14:15], v[6:7]
	v_add_u32_e32 v16, 0x5feec, v2
	v_cvt_f32_f64_e32 v14, v[14:15]
	v_ashrrev_i32_e32 v17, 31, v16
	v_sub_f32_e32 v15, v29, v14
	v_cmp_eq_u32_e32 vcc, 42, v0
	v_lshlrev_b64 v[16:17], 3, v[16:17]
	v_cndmask_b32_e64 v14, -v14, v15, vcc
	v_add_co_u32_e32 v20, vcc, s16, v16
	v_addc_co_u32_e32 v21, vcc, v1, v17, vcc
	global_load_dwordx2 v[20:21], v[20:21], off
	v_add_co_u32_e32 v8, vcc, s14, v8
	v_cvt_f64_f32_e32 v[14:15], v14
	v_addc_co_u32_e32 v9, vcc, v3, v9, vcc
	global_store_dwordx2 v[8:9], v[14:15], off
	v_add_u32_e32 v8, 0x62108, v2
	v_ashrrev_i32_e32 v9, 31, v8
	v_lshlrev_b64 v[8:9], 3, v[8:9]
	v_add_co_u32_e32 v14, vcc, s16, v8
	v_addc_co_u32_e32 v15, vcc, v1, v9, vcc
	global_load_dwordx2 v[14:15], v[14:15], off
	s_waitcnt vmcnt(5)
	v_mul_f64 v[24:25], v[12:13], s[34:35]
	v_rndne_f64_e32 v[24:25], v[24:25]
	v_fma_f64 v[26:27], s[30:31], v[24:25], v[12:13]
	v_fmac_f64_e32 v[26:27], s[6:7], v[24:25]
	v_fma_f64 v[30:31], s[8:9], v[26:27], v[4:5]
	v_fma_f64 v[30:31], v[26:27], v[30:31], s[10:11]
	;; [unrolled: 1-line block ×9, first 2 shown]
	v_fma_f64 v[30:31], v[26:27], v[30:31], 1.0
	v_fma_f64 v[26:27], v[26:27], v[30:31], 1.0
	v_cvt_i32_f64_e32 v24, v[24:25]
	v_ldexp_f64 v[24:25], v[26:27], v24
	v_cmp_nlt_f64_e32 vcc, s[2:3], v[12:13]
	v_cmp_ngt_f64_e64 s[0:1], s[4:5], v[12:13]
	v_cndmask_b32_e32 v25, v28, v25, vcc
	s_and_b64 vcc, s[0:1], vcc
	v_cndmask_b32_e64 v13, 0, v25, s[0:1]
	v_cndmask_b32_e32 v12, 0, v24, vcc
	v_mul_f64 v[12:13], v[12:13], v[6:7]
	v_cvt_f32_f64_e32 v12, v[12:13]
	v_sub_f32_e32 v13, v29, v12
	v_cmp_eq_u32_e32 vcc, 43, v0
	v_cndmask_b32_e64 v12, -v12, v13, vcc
	v_add_co_u32_e32 v10, vcc, s14, v10
	v_cvt_f64_f32_e32 v[12:13], v12
	v_addc_co_u32_e32 v11, vcc, v3, v11, vcc
	global_store_dwordx2 v[10:11], v[12:13], off
	s_waitcnt vmcnt(4)
	v_mul_f64 v[10:11], v[22:23], s[34:35]
	v_rndne_f64_e32 v[10:11], v[10:11]
	v_fma_f64 v[12:13], s[30:31], v[10:11], v[22:23]
	v_fmac_f64_e32 v[12:13], s[6:7], v[10:11]
	v_fma_f64 v[24:25], s[8:9], v[12:13], v[4:5]
	v_fma_f64 v[24:25], v[12:13], v[24:25], s[10:11]
	;; [unrolled: 1-line block ×9, first 2 shown]
	v_fma_f64 v[24:25], v[12:13], v[24:25], 1.0
	v_fma_f64 v[12:13], v[12:13], v[24:25], 1.0
	v_cvt_i32_f64_e32 v10, v[10:11]
	v_ldexp_f64 v[10:11], v[12:13], v10
	v_cmp_nlt_f64_e32 vcc, s[2:3], v[22:23]
	v_cmp_ngt_f64_e64 s[0:1], s[4:5], v[22:23]
	v_cndmask_b32_e32 v11, v28, v11, vcc
	s_and_b64 vcc, s[0:1], vcc
	v_cndmask_b32_e64 v11, 0, v11, s[0:1]
	v_cndmask_b32_e32 v10, 0, v10, vcc
	v_mul_f64 v[10:11], v[10:11], v[6:7]
	v_cvt_f32_f64_e32 v10, v[10:11]
	v_sub_f32_e32 v11, v29, v10
	v_cmp_eq_u32_e32 vcc, 44, v0
	v_cndmask_b32_e64 v10, -v10, v11, vcc
	v_add_co_u32_e32 v12, vcc, s14, v18
	v_cvt_f64_f32_e32 v[10:11], v10
	v_addc_co_u32_e32 v13, vcc, v3, v19, vcc
	global_store_dwordx2 v[12:13], v[10:11], off
	s_waitcnt vmcnt(4)
	v_mul_f64 v[10:11], v[20:21], s[34:35]
	v_rndne_f64_e32 v[18:19], v[10:11]
	v_fma_f64 v[22:23], s[30:31], v[18:19], v[20:21]
	v_fmac_f64_e32 v[22:23], s[6:7], v[18:19]
	v_fma_f64 v[10:11], s[8:9], v[22:23], v[4:5]
	v_fma_f64 v[10:11], v[22:23], v[10:11], s[10:11]
	;; [unrolled: 1-line block ×9, first 2 shown]
	v_add_u32_e32 v10, 0x64324, v2
	v_ashrrev_i32_e32 v11, 31, v10
	v_lshlrev_b64 v[10:11], 3, v[10:11]
	v_add_co_u32_e32 v12, vcc, s16, v10
	v_addc_co_u32_e32 v13, vcc, v1, v11, vcc
	global_load_dwordx2 v[12:13], v[12:13], off
	v_fma_f64 v[24:25], v[22:23], v[24:25], 1.0
	v_fma_f64 v[22:23], v[22:23], v[24:25], 1.0
	v_cvt_i32_f64_e32 v18, v[18:19]
	v_ldexp_f64 v[18:19], v[22:23], v18
	v_cmp_nlt_f64_e32 vcc, s[2:3], v[20:21]
	v_cmp_ngt_f64_e64 s[0:1], s[4:5], v[20:21]
	v_cndmask_b32_e32 v19, v28, v19, vcc
	s_and_b64 vcc, s[0:1], vcc
	v_cndmask_b32_e64 v19, 0, v19, s[0:1]
	v_cndmask_b32_e32 v18, 0, v18, vcc
	v_mul_f64 v[18:19], v[18:19], v[6:7]
	v_cvt_f32_f64_e32 v18, v[18:19]
	v_sub_f32_e32 v19, v29, v18
	v_cmp_eq_u32_e32 vcc, 45, v0
	v_cndmask_b32_e64 v18, -v18, v19, vcc
	v_add_co_u32_e32 v16, vcc, s14, v16
	v_cvt_f64_f32_e32 v[18:19], v18
	v_addc_co_u32_e32 v17, vcc, v3, v17, vcc
	global_store_dwordx2 v[16:17], v[18:19], off
	v_add_u32_e32 v18, 0x66540, v2
	v_ashrrev_i32_e32 v19, 31, v18
	v_lshlrev_b64 v[18:19], 3, v[18:19]
	v_add_co_u32_e32 v22, vcc, s16, v18
	v_addc_co_u32_e32 v23, vcc, v1, v19, vcc
	s_waitcnt vmcnt(4)
	v_mul_f64 v[16:17], v[14:15], s[34:35]
	global_load_dwordx2 v[22:23], v[22:23], off
	v_rndne_f64_e32 v[16:17], v[16:17]
	v_fma_f64 v[20:21], s[30:31], v[16:17], v[14:15]
	v_fmac_f64_e32 v[20:21], s[6:7], v[16:17]
	v_fma_f64 v[24:25], s[8:9], v[20:21], v[4:5]
	v_fma_f64 v[24:25], v[20:21], v[24:25], s[10:11]
	;; [unrolled: 1-line block ×9, first 2 shown]
	v_fma_f64 v[24:25], v[20:21], v[24:25], 1.0
	v_fma_f64 v[20:21], v[20:21], v[24:25], 1.0
	v_cvt_i32_f64_e32 v16, v[16:17]
	v_ldexp_f64 v[16:17], v[20:21], v16
	v_cmp_nlt_f64_e32 vcc, s[2:3], v[14:15]
	v_cmp_ngt_f64_e64 s[0:1], s[4:5], v[14:15]
	v_cndmask_b32_e32 v17, v28, v17, vcc
	s_and_b64 vcc, s[0:1], vcc
	v_cndmask_b32_e64 v15, 0, v17, s[0:1]
	v_cndmask_b32_e32 v14, 0, v16, vcc
	v_mul_f64 v[14:15], v[14:15], v[6:7]
	v_add_u32_e32 v16, 0x6875c, v2
	v_cvt_f32_f64_e32 v14, v[14:15]
	v_ashrrev_i32_e32 v17, 31, v16
	v_sub_f32_e32 v15, v29, v14
	v_cmp_eq_u32_e32 vcc, 46, v0
	v_lshlrev_b64 v[16:17], 3, v[16:17]
	v_cndmask_b32_e64 v14, -v14, v15, vcc
	v_add_co_u32_e32 v20, vcc, s16, v16
	v_addc_co_u32_e32 v21, vcc, v1, v17, vcc
	global_load_dwordx2 v[20:21], v[20:21], off
	v_add_co_u32_e32 v8, vcc, s14, v8
	v_cvt_f64_f32_e32 v[14:15], v14
	v_addc_co_u32_e32 v9, vcc, v3, v9, vcc
	global_store_dwordx2 v[8:9], v[14:15], off
	v_add_u32_e32 v8, 0x6a978, v2
	v_ashrrev_i32_e32 v9, 31, v8
	v_lshlrev_b64 v[8:9], 3, v[8:9]
	v_add_co_u32_e32 v14, vcc, s16, v8
	v_addc_co_u32_e32 v15, vcc, v1, v9, vcc
	global_load_dwordx2 v[14:15], v[14:15], off
	s_waitcnt vmcnt(5)
	v_mul_f64 v[24:25], v[12:13], s[34:35]
	v_rndne_f64_e32 v[24:25], v[24:25]
	v_fma_f64 v[26:27], s[30:31], v[24:25], v[12:13]
	v_fmac_f64_e32 v[26:27], s[6:7], v[24:25]
	v_fma_f64 v[30:31], s[8:9], v[26:27], v[4:5]
	v_fma_f64 v[30:31], v[26:27], v[30:31], s[10:11]
	;; [unrolled: 1-line block ×9, first 2 shown]
	v_fma_f64 v[30:31], v[26:27], v[30:31], 1.0
	v_fma_f64 v[26:27], v[26:27], v[30:31], 1.0
	v_cvt_i32_f64_e32 v24, v[24:25]
	v_ldexp_f64 v[24:25], v[26:27], v24
	v_cmp_nlt_f64_e32 vcc, s[2:3], v[12:13]
	v_cmp_ngt_f64_e64 s[0:1], s[4:5], v[12:13]
	v_cndmask_b32_e32 v25, v28, v25, vcc
	s_and_b64 vcc, s[0:1], vcc
	v_cndmask_b32_e64 v13, 0, v25, s[0:1]
	v_cndmask_b32_e32 v12, 0, v24, vcc
	v_mul_f64 v[12:13], v[12:13], v[6:7]
	v_cvt_f32_f64_e32 v12, v[12:13]
	v_sub_f32_e32 v13, v29, v12
	v_cmp_eq_u32_e32 vcc, 47, v0
	v_cndmask_b32_e64 v12, -v12, v13, vcc
	v_add_co_u32_e32 v10, vcc, s14, v10
	v_cvt_f64_f32_e32 v[12:13], v12
	v_addc_co_u32_e32 v11, vcc, v3, v11, vcc
	global_store_dwordx2 v[10:11], v[12:13], off
	s_waitcnt vmcnt(4)
	v_mul_f64 v[10:11], v[22:23], s[34:35]
	v_rndne_f64_e32 v[10:11], v[10:11]
	v_fma_f64 v[12:13], s[30:31], v[10:11], v[22:23]
	v_fmac_f64_e32 v[12:13], s[6:7], v[10:11]
	v_fma_f64 v[24:25], s[8:9], v[12:13], v[4:5]
	v_fma_f64 v[24:25], v[12:13], v[24:25], s[10:11]
	;; [unrolled: 1-line block ×9, first 2 shown]
	v_fma_f64 v[24:25], v[12:13], v[24:25], 1.0
	v_fma_f64 v[12:13], v[12:13], v[24:25], 1.0
	v_cvt_i32_f64_e32 v10, v[10:11]
	v_ldexp_f64 v[10:11], v[12:13], v10
	v_cmp_nlt_f64_e32 vcc, s[2:3], v[22:23]
	v_cmp_ngt_f64_e64 s[0:1], s[4:5], v[22:23]
	v_cndmask_b32_e32 v11, v28, v11, vcc
	s_and_b64 vcc, s[0:1], vcc
	v_cndmask_b32_e64 v11, 0, v11, s[0:1]
	v_cndmask_b32_e32 v10, 0, v10, vcc
	v_mul_f64 v[10:11], v[10:11], v[6:7]
	v_cvt_f32_f64_e32 v10, v[10:11]
	v_sub_f32_e32 v11, v29, v10
	v_cmp_eq_u32_e32 vcc, 48, v0
	v_cndmask_b32_e64 v10, -v10, v11, vcc
	v_add_co_u32_e32 v12, vcc, s14, v18
	v_cvt_f64_f32_e32 v[10:11], v10
	v_addc_co_u32_e32 v13, vcc, v3, v19, vcc
	global_store_dwordx2 v[12:13], v[10:11], off
	s_waitcnt vmcnt(4)
	v_mul_f64 v[10:11], v[20:21], s[34:35]
	v_rndne_f64_e32 v[18:19], v[10:11]
	v_fma_f64 v[22:23], s[30:31], v[18:19], v[20:21]
	v_fmac_f64_e32 v[22:23], s[6:7], v[18:19]
	v_fma_f64 v[10:11], s[8:9], v[22:23], v[4:5]
	v_fma_f64 v[10:11], v[22:23], v[10:11], s[10:11]
	;; [unrolled: 1-line block ×9, first 2 shown]
	v_add_u32_e32 v10, 0x6cb94, v2
	v_ashrrev_i32_e32 v11, 31, v10
	v_lshlrev_b64 v[10:11], 3, v[10:11]
	v_add_co_u32_e32 v12, vcc, s16, v10
	v_addc_co_u32_e32 v13, vcc, v1, v11, vcc
	global_load_dwordx2 v[12:13], v[12:13], off
	v_fma_f64 v[24:25], v[22:23], v[24:25], 1.0
	v_fma_f64 v[22:23], v[22:23], v[24:25], 1.0
	v_cvt_i32_f64_e32 v18, v[18:19]
	v_ldexp_f64 v[18:19], v[22:23], v18
	v_cmp_nlt_f64_e32 vcc, s[2:3], v[20:21]
	v_cmp_ngt_f64_e64 s[0:1], s[4:5], v[20:21]
	v_cndmask_b32_e32 v19, v28, v19, vcc
	s_and_b64 vcc, s[0:1], vcc
	v_cndmask_b32_e64 v19, 0, v19, s[0:1]
	v_cndmask_b32_e32 v18, 0, v18, vcc
	v_mul_f64 v[18:19], v[18:19], v[6:7]
	v_cvt_f32_f64_e32 v18, v[18:19]
	v_sub_f32_e32 v19, v29, v18
	v_cmp_eq_u32_e32 vcc, 49, v0
	v_cndmask_b32_e64 v18, -v18, v19, vcc
	v_add_co_u32_e32 v16, vcc, s14, v16
	v_cvt_f64_f32_e32 v[18:19], v18
	v_addc_co_u32_e32 v17, vcc, v3, v17, vcc
	global_store_dwordx2 v[16:17], v[18:19], off
	v_add_u32_e32 v18, 0x6edb0, v2
	v_ashrrev_i32_e32 v19, 31, v18
	v_lshlrev_b64 v[18:19], 3, v[18:19]
	v_add_co_u32_e32 v22, vcc, s16, v18
	v_addc_co_u32_e32 v23, vcc, v1, v19, vcc
	s_waitcnt vmcnt(4)
	v_mul_f64 v[16:17], v[14:15], s[34:35]
	global_load_dwordx2 v[22:23], v[22:23], off
	v_rndne_f64_e32 v[16:17], v[16:17]
	v_fma_f64 v[20:21], s[30:31], v[16:17], v[14:15]
	v_fmac_f64_e32 v[20:21], s[6:7], v[16:17]
	v_fma_f64 v[24:25], s[8:9], v[20:21], v[4:5]
	v_fma_f64 v[24:25], v[20:21], v[24:25], s[10:11]
	;; [unrolled: 1-line block ×9, first 2 shown]
	v_fma_f64 v[24:25], v[20:21], v[24:25], 1.0
	v_fma_f64 v[20:21], v[20:21], v[24:25], 1.0
	v_cvt_i32_f64_e32 v16, v[16:17]
	v_ldexp_f64 v[16:17], v[20:21], v16
	v_cmp_nlt_f64_e32 vcc, s[2:3], v[14:15]
	v_cmp_ngt_f64_e64 s[0:1], s[4:5], v[14:15]
	v_cndmask_b32_e32 v17, v28, v17, vcc
	s_and_b64 vcc, s[0:1], vcc
	v_cndmask_b32_e64 v15, 0, v17, s[0:1]
	v_cndmask_b32_e32 v14, 0, v16, vcc
	v_mul_f64 v[14:15], v[14:15], v[6:7]
	v_add_u32_e32 v16, 0x70fcc, v2
	v_cvt_f32_f64_e32 v14, v[14:15]
	v_ashrrev_i32_e32 v17, 31, v16
	v_sub_f32_e32 v15, v29, v14
	v_cmp_eq_u32_e32 vcc, 50, v0
	v_lshlrev_b64 v[16:17], 3, v[16:17]
	v_cndmask_b32_e64 v14, -v14, v15, vcc
	v_add_co_u32_e32 v20, vcc, s16, v16
	v_addc_co_u32_e32 v21, vcc, v1, v17, vcc
	global_load_dwordx2 v[20:21], v[20:21], off
	v_add_co_u32_e32 v8, vcc, s14, v8
	v_cvt_f64_f32_e32 v[14:15], v14
	v_addc_co_u32_e32 v9, vcc, v3, v9, vcc
	global_store_dwordx2 v[8:9], v[14:15], off
	v_add_u32_e32 v8, 0x731e8, v2
	v_ashrrev_i32_e32 v9, 31, v8
	v_lshlrev_b64 v[8:9], 3, v[8:9]
	v_add_co_u32_e32 v14, vcc, s16, v8
	v_addc_co_u32_e32 v15, vcc, v1, v9, vcc
	global_load_dwordx2 v[14:15], v[14:15], off
	s_waitcnt vmcnt(5)
	v_mul_f64 v[24:25], v[12:13], s[34:35]
	v_rndne_f64_e32 v[24:25], v[24:25]
	v_fma_f64 v[26:27], s[30:31], v[24:25], v[12:13]
	v_fmac_f64_e32 v[26:27], s[6:7], v[24:25]
	v_fma_f64 v[30:31], s[8:9], v[26:27], v[4:5]
	v_fma_f64 v[30:31], v[26:27], v[30:31], s[10:11]
	;; [unrolled: 1-line block ×9, first 2 shown]
	v_fma_f64 v[30:31], v[26:27], v[30:31], 1.0
	v_fma_f64 v[26:27], v[26:27], v[30:31], 1.0
	v_cvt_i32_f64_e32 v24, v[24:25]
	v_ldexp_f64 v[24:25], v[26:27], v24
	v_cmp_nlt_f64_e32 vcc, s[2:3], v[12:13]
	v_cmp_ngt_f64_e64 s[0:1], s[4:5], v[12:13]
	v_cndmask_b32_e32 v25, v28, v25, vcc
	s_and_b64 vcc, s[0:1], vcc
	v_cndmask_b32_e64 v13, 0, v25, s[0:1]
	v_cndmask_b32_e32 v12, 0, v24, vcc
	v_mul_f64 v[12:13], v[12:13], v[6:7]
	v_cvt_f32_f64_e32 v12, v[12:13]
	v_sub_f32_e32 v13, v29, v12
	v_cmp_eq_u32_e32 vcc, 51, v0
	v_cndmask_b32_e64 v12, -v12, v13, vcc
	v_add_co_u32_e32 v10, vcc, s14, v10
	v_cvt_f64_f32_e32 v[12:13], v12
	v_addc_co_u32_e32 v11, vcc, v3, v11, vcc
	global_store_dwordx2 v[10:11], v[12:13], off
	s_waitcnt vmcnt(4)
	v_mul_f64 v[10:11], v[22:23], s[34:35]
	v_rndne_f64_e32 v[10:11], v[10:11]
	v_fma_f64 v[12:13], s[30:31], v[10:11], v[22:23]
	v_fmac_f64_e32 v[12:13], s[6:7], v[10:11]
	v_fma_f64 v[24:25], s[8:9], v[12:13], v[4:5]
	v_fma_f64 v[24:25], v[12:13], v[24:25], s[10:11]
	;; [unrolled: 1-line block ×9, first 2 shown]
	v_fma_f64 v[24:25], v[12:13], v[24:25], 1.0
	v_fma_f64 v[12:13], v[12:13], v[24:25], 1.0
	v_cvt_i32_f64_e32 v10, v[10:11]
	v_ldexp_f64 v[10:11], v[12:13], v10
	v_cmp_nlt_f64_e32 vcc, s[2:3], v[22:23]
	v_cmp_ngt_f64_e64 s[0:1], s[4:5], v[22:23]
	v_cndmask_b32_e32 v11, v28, v11, vcc
	s_and_b64 vcc, s[0:1], vcc
	v_cndmask_b32_e64 v11, 0, v11, s[0:1]
	v_cndmask_b32_e32 v10, 0, v10, vcc
	v_mul_f64 v[10:11], v[10:11], v[6:7]
	v_cvt_f32_f64_e32 v10, v[10:11]
	v_sub_f32_e32 v11, v29, v10
	v_cmp_eq_u32_e32 vcc, 52, v0
	v_cndmask_b32_e64 v10, -v10, v11, vcc
	v_add_co_u32_e32 v12, vcc, s14, v18
	v_cvt_f64_f32_e32 v[10:11], v10
	v_addc_co_u32_e32 v13, vcc, v3, v19, vcc
	global_store_dwordx2 v[12:13], v[10:11], off
	s_waitcnt vmcnt(4)
	v_mul_f64 v[10:11], v[20:21], s[34:35]
	v_rndne_f64_e32 v[18:19], v[10:11]
	v_fma_f64 v[22:23], s[30:31], v[18:19], v[20:21]
	v_fmac_f64_e32 v[22:23], s[6:7], v[18:19]
	v_fma_f64 v[10:11], s[8:9], v[22:23], v[4:5]
	v_fma_f64 v[10:11], v[22:23], v[10:11], s[10:11]
	;; [unrolled: 1-line block ×9, first 2 shown]
	v_add_u32_e32 v10, 0x75404, v2
	v_ashrrev_i32_e32 v11, 31, v10
	v_lshlrev_b64 v[10:11], 3, v[10:11]
	v_add_co_u32_e32 v12, vcc, s16, v10
	v_addc_co_u32_e32 v13, vcc, v1, v11, vcc
	global_load_dwordx2 v[12:13], v[12:13], off
	v_fma_f64 v[24:25], v[22:23], v[24:25], 1.0
	v_fma_f64 v[22:23], v[22:23], v[24:25], 1.0
	v_cvt_i32_f64_e32 v18, v[18:19]
	v_ldexp_f64 v[18:19], v[22:23], v18
	v_cmp_nlt_f64_e32 vcc, s[2:3], v[20:21]
	v_cmp_ngt_f64_e64 s[0:1], s[4:5], v[20:21]
	v_cndmask_b32_e32 v19, v28, v19, vcc
	s_and_b64 vcc, s[0:1], vcc
	v_cndmask_b32_e64 v19, 0, v19, s[0:1]
	v_cndmask_b32_e32 v18, 0, v18, vcc
	v_mul_f64 v[18:19], v[18:19], v[6:7]
	v_cvt_f32_f64_e32 v18, v[18:19]
	v_sub_f32_e32 v19, v29, v18
	v_cmp_eq_u32_e32 vcc, 53, v0
	v_cndmask_b32_e64 v18, -v18, v19, vcc
	v_add_co_u32_e32 v16, vcc, s14, v16
	v_cvt_f64_f32_e32 v[18:19], v18
	v_addc_co_u32_e32 v17, vcc, v3, v17, vcc
	global_store_dwordx2 v[16:17], v[18:19], off
	v_add_u32_e32 v18, 0x77620, v2
	v_ashrrev_i32_e32 v19, 31, v18
	v_lshlrev_b64 v[18:19], 3, v[18:19]
	v_add_co_u32_e32 v22, vcc, s16, v18
	v_addc_co_u32_e32 v23, vcc, v1, v19, vcc
	s_waitcnt vmcnt(4)
	v_mul_f64 v[16:17], v[14:15], s[34:35]
	global_load_dwordx2 v[22:23], v[22:23], off
	v_rndne_f64_e32 v[16:17], v[16:17]
	v_fma_f64 v[20:21], s[30:31], v[16:17], v[14:15]
	v_fmac_f64_e32 v[20:21], s[6:7], v[16:17]
	v_fma_f64 v[24:25], s[8:9], v[20:21], v[4:5]
	v_fma_f64 v[24:25], v[20:21], v[24:25], s[10:11]
	;; [unrolled: 1-line block ×9, first 2 shown]
	v_fma_f64 v[24:25], v[20:21], v[24:25], 1.0
	v_fma_f64 v[20:21], v[20:21], v[24:25], 1.0
	v_cvt_i32_f64_e32 v16, v[16:17]
	v_ldexp_f64 v[16:17], v[20:21], v16
	v_cmp_nlt_f64_e32 vcc, s[2:3], v[14:15]
	v_cmp_ngt_f64_e64 s[0:1], s[4:5], v[14:15]
	v_cndmask_b32_e32 v17, v28, v17, vcc
	s_and_b64 vcc, s[0:1], vcc
	v_cndmask_b32_e64 v15, 0, v17, s[0:1]
	v_cndmask_b32_e32 v14, 0, v16, vcc
	v_mul_f64 v[14:15], v[14:15], v[6:7]
	v_add_u32_e32 v16, 0x7983c, v2
	v_cvt_f32_f64_e32 v14, v[14:15]
	v_ashrrev_i32_e32 v17, 31, v16
	v_sub_f32_e32 v15, v29, v14
	v_cmp_eq_u32_e32 vcc, 54, v0
	v_lshlrev_b64 v[16:17], 3, v[16:17]
	v_cndmask_b32_e64 v14, -v14, v15, vcc
	v_add_co_u32_e32 v20, vcc, s16, v16
	v_addc_co_u32_e32 v21, vcc, v1, v17, vcc
	global_load_dwordx2 v[20:21], v[20:21], off
	v_add_co_u32_e32 v8, vcc, s14, v8
	v_cvt_f64_f32_e32 v[14:15], v14
	v_addc_co_u32_e32 v9, vcc, v3, v9, vcc
	global_store_dwordx2 v[8:9], v[14:15], off
	v_add_u32_e32 v8, 0x7ba58, v2
	v_ashrrev_i32_e32 v9, 31, v8
	v_lshlrev_b64 v[8:9], 3, v[8:9]
	v_add_co_u32_e32 v14, vcc, s16, v8
	v_addc_co_u32_e32 v15, vcc, v1, v9, vcc
	global_load_dwordx2 v[14:15], v[14:15], off
	s_waitcnt vmcnt(5)
	v_mul_f64 v[24:25], v[12:13], s[34:35]
	v_rndne_f64_e32 v[24:25], v[24:25]
	v_fma_f64 v[26:27], s[30:31], v[24:25], v[12:13]
	v_fmac_f64_e32 v[26:27], s[6:7], v[24:25]
	v_fma_f64 v[30:31], s[8:9], v[26:27], v[4:5]
	v_fma_f64 v[30:31], v[26:27], v[30:31], s[10:11]
	;; [unrolled: 1-line block ×9, first 2 shown]
	v_fma_f64 v[30:31], v[26:27], v[30:31], 1.0
	v_fma_f64 v[26:27], v[26:27], v[30:31], 1.0
	v_cvt_i32_f64_e32 v24, v[24:25]
	v_ldexp_f64 v[24:25], v[26:27], v24
	v_cmp_nlt_f64_e32 vcc, s[2:3], v[12:13]
	v_cmp_ngt_f64_e64 s[0:1], s[4:5], v[12:13]
	v_cndmask_b32_e32 v25, v28, v25, vcc
	s_and_b64 vcc, s[0:1], vcc
	v_cndmask_b32_e64 v13, 0, v25, s[0:1]
	v_cndmask_b32_e32 v12, 0, v24, vcc
	v_mul_f64 v[12:13], v[12:13], v[6:7]
	v_cvt_f32_f64_e32 v12, v[12:13]
	v_sub_f32_e32 v13, v29, v12
	v_cmp_eq_u32_e32 vcc, 55, v0
	v_cndmask_b32_e64 v12, -v12, v13, vcc
	v_add_co_u32_e32 v10, vcc, s14, v10
	v_cvt_f64_f32_e32 v[12:13], v12
	v_addc_co_u32_e32 v11, vcc, v3, v11, vcc
	global_store_dwordx2 v[10:11], v[12:13], off
	s_waitcnt vmcnt(4)
	v_mul_f64 v[10:11], v[22:23], s[34:35]
	v_rndne_f64_e32 v[10:11], v[10:11]
	v_fma_f64 v[12:13], s[30:31], v[10:11], v[22:23]
	v_fmac_f64_e32 v[12:13], s[6:7], v[10:11]
	v_fma_f64 v[24:25], s[8:9], v[12:13], v[4:5]
	v_fma_f64 v[24:25], v[12:13], v[24:25], s[10:11]
	;; [unrolled: 1-line block ×9, first 2 shown]
	v_fma_f64 v[24:25], v[12:13], v[24:25], 1.0
	v_fma_f64 v[12:13], v[12:13], v[24:25], 1.0
	v_cvt_i32_f64_e32 v10, v[10:11]
	v_ldexp_f64 v[10:11], v[12:13], v10
	v_cmp_nlt_f64_e32 vcc, s[2:3], v[22:23]
	v_cmp_ngt_f64_e64 s[0:1], s[4:5], v[22:23]
	v_cndmask_b32_e32 v11, v28, v11, vcc
	s_and_b64 vcc, s[0:1], vcc
	v_cndmask_b32_e64 v11, 0, v11, s[0:1]
	v_cndmask_b32_e32 v10, 0, v10, vcc
	v_mul_f64 v[10:11], v[10:11], v[6:7]
	v_cvt_f32_f64_e32 v10, v[10:11]
	v_sub_f32_e32 v11, v29, v10
	v_cmp_eq_u32_e32 vcc, 56, v0
	v_cndmask_b32_e64 v10, -v10, v11, vcc
	v_add_co_u32_e32 v12, vcc, s14, v18
	v_cvt_f64_f32_e32 v[10:11], v10
	v_addc_co_u32_e32 v13, vcc, v3, v19, vcc
	global_store_dwordx2 v[12:13], v[10:11], off
	s_waitcnt vmcnt(4)
	v_mul_f64 v[10:11], v[20:21], s[34:35]
	v_rndne_f64_e32 v[18:19], v[10:11]
	v_fma_f64 v[22:23], s[30:31], v[18:19], v[20:21]
	v_fmac_f64_e32 v[22:23], s[6:7], v[18:19]
	v_fma_f64 v[10:11], s[8:9], v[22:23], v[4:5]
	v_fma_f64 v[10:11], v[22:23], v[10:11], s[10:11]
	;; [unrolled: 1-line block ×9, first 2 shown]
	v_add_u32_e32 v10, 0x7dc74, v2
	v_ashrrev_i32_e32 v11, 31, v10
	v_lshlrev_b64 v[10:11], 3, v[10:11]
	v_add_co_u32_e32 v12, vcc, s16, v10
	v_addc_co_u32_e32 v13, vcc, v1, v11, vcc
	global_load_dwordx2 v[12:13], v[12:13], off
	v_fma_f64 v[24:25], v[22:23], v[24:25], 1.0
	v_fma_f64 v[22:23], v[22:23], v[24:25], 1.0
	v_cvt_i32_f64_e32 v18, v[18:19]
	v_ldexp_f64 v[18:19], v[22:23], v18
	v_cmp_nlt_f64_e32 vcc, s[2:3], v[20:21]
	v_cmp_ngt_f64_e64 s[0:1], s[4:5], v[20:21]
	v_cndmask_b32_e32 v19, v28, v19, vcc
	s_and_b64 vcc, s[0:1], vcc
	v_cndmask_b32_e64 v19, 0, v19, s[0:1]
	v_cndmask_b32_e32 v18, 0, v18, vcc
	v_mul_f64 v[18:19], v[18:19], v[6:7]
	v_cvt_f32_f64_e32 v18, v[18:19]
	v_sub_f32_e32 v19, v29, v18
	v_cmp_eq_u32_e32 vcc, 57, v0
	v_add_u32_e32 v20, 0x7fe90, v2
	v_cndmask_b32_e64 v18, -v18, v19, vcc
	v_add_co_u32_e32 v16, vcc, s14, v16
	v_ashrrev_i32_e32 v21, 31, v20
	v_addc_co_u32_e32 v17, vcc, v3, v17, vcc
	v_lshlrev_b64 v[20:21], 3, v[20:21]
	v_add_co_u32_e32 v24, vcc, s16, v20
	v_cvt_f64_f32_e32 v[18:19], v18
	v_addc_co_u32_e32 v25, vcc, v1, v21, vcc
	global_store_dwordx2 v[16:17], v[18:19], off
	s_waitcnt vmcnt(4)
	v_mul_f64 v[16:17], v[14:15], s[34:35]
	global_load_dwordx2 v[24:25], v[24:25], off
	v_rndne_f64_e32 v[16:17], v[16:17]
	v_fma_f64 v[18:19], s[30:31], v[16:17], v[14:15]
	v_fmac_f64_e32 v[18:19], s[6:7], v[16:17]
	v_fma_f64 v[22:23], s[8:9], v[18:19], v[4:5]
	v_fma_f64 v[22:23], v[18:19], v[22:23], s[10:11]
	;; [unrolled: 1-line block ×9, first 2 shown]
	v_fma_f64 v[22:23], v[18:19], v[22:23], 1.0
	v_fma_f64 v[18:19], v[18:19], v[22:23], 1.0
	v_cvt_i32_f64_e32 v16, v[16:17]
	v_ldexp_f64 v[16:17], v[18:19], v16
	v_cmp_nlt_f64_e32 vcc, s[2:3], v[14:15]
	v_cmp_ngt_f64_e64 s[0:1], s[4:5], v[14:15]
	v_cndmask_b32_e32 v17, v28, v17, vcc
	s_and_b64 vcc, s[0:1], vcc
	v_cndmask_b32_e64 v15, 0, v17, s[0:1]
	v_cndmask_b32_e32 v14, 0, v16, vcc
	v_mul_f64 v[14:15], v[14:15], v[6:7]
	v_add_u32_e32 v16, 0x820ac, v2
	v_cvt_f32_f64_e32 v14, v[14:15]
	v_ashrrev_i32_e32 v17, 31, v16
	v_sub_f32_e32 v15, v29, v14
	v_cmp_eq_u32_e32 vcc, 58, v0
	v_lshlrev_b64 v[18:19], 3, v[16:17]
	v_cndmask_b32_e64 v14, -v14, v15, vcc
	v_add_co_u32_e32 v16, vcc, s16, v18
	v_addc_co_u32_e32 v17, vcc, v1, v19, vcc
	global_load_dwordx2 v[22:23], v[16:17], off
	v_add_co_u32_e32 v8, vcc, s14, v8
	v_cvt_f64_f32_e32 v[14:15], v14
	v_addc_co_u32_e32 v9, vcc, v3, v9, vcc
	global_store_dwordx2 v[8:9], v[14:15], off
	v_add_u32_e32 v8, 0x842c8, v2
	v_ashrrev_i32_e32 v9, 31, v8
	v_lshlrev_b64 v[8:9], 3, v[8:9]
	v_add_co_u32_e32 v14, vcc, s16, v8
	v_addc_co_u32_e32 v15, vcc, v1, v9, vcc
	global_load_dwordx2 v[16:17], v[14:15], off
	s_waitcnt vmcnt(5)
	v_mul_f64 v[14:15], v[12:13], s[34:35]
	v_rndne_f64_e32 v[14:15], v[14:15]
	v_fma_f64 v[26:27], s[30:31], v[14:15], v[12:13]
	v_fmac_f64_e32 v[26:27], s[6:7], v[14:15]
	v_fma_f64 v[30:31], s[8:9], v[26:27], v[4:5]
	v_fma_f64 v[30:31], v[26:27], v[30:31], s[10:11]
	;; [unrolled: 1-line block ×9, first 2 shown]
	v_fma_f64 v[30:31], v[26:27], v[30:31], 1.0
	v_fma_f64 v[26:27], v[26:27], v[30:31], 1.0
	v_cvt_i32_f64_e32 v14, v[14:15]
	v_ldexp_f64 v[14:15], v[26:27], v14
	v_cmp_nlt_f64_e32 vcc, s[2:3], v[12:13]
	v_cmp_ngt_f64_e64 s[0:1], s[4:5], v[12:13]
	v_cndmask_b32_e32 v15, v28, v15, vcc
	s_and_b64 vcc, s[0:1], vcc
	v_cndmask_b32_e64 v13, 0, v15, s[0:1]
	v_cndmask_b32_e32 v12, 0, v14, vcc
	v_mul_f64 v[12:13], v[12:13], v[6:7]
	v_cvt_f32_f64_e32 v12, v[12:13]
	v_sub_f32_e32 v13, v29, v12
	v_cmp_eq_u32_e32 vcc, 59, v0
	v_cndmask_b32_e64 v12, -v12, v13, vcc
	v_add_co_u32_e32 v10, vcc, s14, v10
	v_cvt_f64_f32_e32 v[12:13], v12
	v_addc_co_u32_e32 v11, vcc, v3, v11, vcc
	global_store_dwordx2 v[10:11], v[12:13], off
	s_waitcnt vmcnt(4)
	v_mul_f64 v[10:11], v[24:25], s[34:35]
	v_rndne_f64_e32 v[10:11], v[10:11]
	v_fma_f64 v[12:13], s[30:31], v[10:11], v[24:25]
	v_fmac_f64_e32 v[12:13], s[6:7], v[10:11]
	v_fma_f64 v[14:15], s[8:9], v[12:13], v[4:5]
	v_fma_f64 v[14:15], v[12:13], v[14:15], s[10:11]
	;; [unrolled: 1-line block ×9, first 2 shown]
	v_fma_f64 v[14:15], v[12:13], v[14:15], 1.0
	v_fma_f64 v[12:13], v[12:13], v[14:15], 1.0
	v_cvt_i32_f64_e32 v10, v[10:11]
	v_ldexp_f64 v[10:11], v[12:13], v10
	v_cmp_nlt_f64_e32 vcc, s[2:3], v[24:25]
	v_cmp_ngt_f64_e64 s[0:1], s[4:5], v[24:25]
	v_cndmask_b32_e32 v11, v28, v11, vcc
	s_and_b64 vcc, s[0:1], vcc
	v_cndmask_b32_e64 v11, 0, v11, s[0:1]
	v_cndmask_b32_e32 v10, 0, v10, vcc
	v_mul_f64 v[10:11], v[10:11], v[6:7]
	v_cvt_f32_f64_e32 v10, v[10:11]
	v_sub_f32_e32 v11, v29, v10
	v_cmp_eq_u32_e32 vcc, 60, v0
	v_cndmask_b32_e64 v10, -v10, v11, vcc
	v_add_co_u32_e32 v12, vcc, s14, v20
	v_cvt_f64_f32_e32 v[10:11], v10
	v_addc_co_u32_e32 v13, vcc, v3, v21, vcc
	global_store_dwordx2 v[12:13], v[10:11], off
	s_waitcnt vmcnt(4)
	v_mul_f64 v[10:11], v[22:23], s[34:35]
	v_rndne_f64_e32 v[10:11], v[10:11]
	v_fma_f64 v[20:21], s[30:31], v[10:11], v[22:23]
	v_fmac_f64_e32 v[20:21], s[6:7], v[10:11]
	v_fma_f64 v[12:13], s[8:9], v[20:21], v[4:5]
	v_fma_f64 v[12:13], v[20:21], v[12:13], s[10:11]
	;; [unrolled: 1-line block ×9, first 2 shown]
	v_add_u32_e32 v12, 0x864e4, v2
	v_ashrrev_i32_e32 v13, 31, v12
	v_lshlrev_b64 v[12:13], 3, v[12:13]
	v_add_co_u32_e32 v14, vcc, s16, v12
	v_addc_co_u32_e32 v15, vcc, v1, v13, vcc
	global_load_dwordx2 v[14:15], v[14:15], off
	v_fma_f64 v[24:25], v[20:21], v[24:25], 1.0
	v_fma_f64 v[20:21], v[20:21], v[24:25], 1.0
	v_cvt_i32_f64_e32 v10, v[10:11]
	v_ldexp_f64 v[10:11], v[20:21], v10
	v_cmp_nlt_f64_e32 vcc, s[2:3], v[22:23]
	v_cmp_ngt_f64_e64 s[0:1], s[4:5], v[22:23]
	v_cndmask_b32_e32 v11, v28, v11, vcc
	s_and_b64 vcc, s[0:1], vcc
	v_cndmask_b32_e64 v11, 0, v11, s[0:1]
	v_cndmask_b32_e32 v10, 0, v10, vcc
	v_mul_f64 v[10:11], v[10:11], v[6:7]
	v_cvt_f32_f64_e32 v10, v[10:11]
	v_sub_f32_e32 v11, v29, v10
	v_cmp_eq_u32_e32 vcc, 61, v0
	v_add_u32_e32 v20, 0x88700, v2
	v_cndmask_b32_e64 v10, -v10, v11, vcc
	v_add_co_u32_e32 v18, vcc, s14, v18
	v_ashrrev_i32_e32 v21, 31, v20
	v_addc_co_u32_e32 v19, vcc, v3, v19, vcc
	v_lshlrev_b64 v[20:21], 3, v[20:21]
	v_add_co_u32_e32 v24, vcc, s16, v20
	v_cvt_f64_f32_e32 v[10:11], v10
	v_addc_co_u32_e32 v25, vcc, v1, v21, vcc
	global_store_dwordx2 v[18:19], v[10:11], off
	s_waitcnt vmcnt(4)
	v_mul_f64 v[10:11], v[16:17], s[34:35]
	global_load_dwordx2 v[24:25], v[24:25], off
	v_rndne_f64_e32 v[10:11], v[10:11]
	v_fma_f64 v[18:19], s[30:31], v[10:11], v[16:17]
	v_fmac_f64_e32 v[18:19], s[6:7], v[10:11]
	v_fma_f64 v[22:23], s[8:9], v[18:19], v[4:5]
	v_fma_f64 v[22:23], v[18:19], v[22:23], s[10:11]
	;; [unrolled: 1-line block ×9, first 2 shown]
	v_fma_f64 v[22:23], v[18:19], v[22:23], 1.0
	v_fma_f64 v[18:19], v[18:19], v[22:23], 1.0
	v_cvt_i32_f64_e32 v10, v[10:11]
	v_ldexp_f64 v[10:11], v[18:19], v10
	v_cmp_nlt_f64_e32 vcc, s[2:3], v[16:17]
	v_cmp_ngt_f64_e64 s[0:1], s[4:5], v[16:17]
	v_cndmask_b32_e32 v11, v28, v11, vcc
	s_and_b64 vcc, s[0:1], vcc
	v_cndmask_b32_e64 v11, 0, v11, s[0:1]
	v_cndmask_b32_e32 v10, 0, v10, vcc
	v_mul_f64 v[10:11], v[10:11], v[6:7]
	v_add_u32_e32 v16, 0x8a91c, v2
	v_cvt_f32_f64_e32 v10, v[10:11]
	v_ashrrev_i32_e32 v17, 31, v16
	v_sub_f32_e32 v11, v29, v10
	v_cmp_eq_u32_e32 vcc, 62, v0
	v_lshlrev_b64 v[18:19], 3, v[16:17]
	v_cndmask_b32_e64 v10, -v10, v11, vcc
	v_add_co_u32_e32 v16, vcc, s16, v18
	v_addc_co_u32_e32 v17, vcc, v1, v19, vcc
	global_load_dwordx2 v[22:23], v[16:17], off
	v_add_co_u32_e32 v8, vcc, s14, v8
	v_cvt_f64_f32_e32 v[10:11], v10
	v_addc_co_u32_e32 v9, vcc, v3, v9, vcc
	global_store_dwordx2 v[8:9], v[10:11], off
	v_add_u32_e32 v8, 0x8cb38, v2
	v_ashrrev_i32_e32 v9, 31, v8
	v_lshlrev_b64 v[10:11], 3, v[8:9]
	v_add_co_u32_e32 v8, vcc, s16, v10
	v_addc_co_u32_e32 v9, vcc, v1, v11, vcc
	global_load_dwordx2 v[16:17], v[8:9], off
	s_waitcnt vmcnt(5)
	v_mul_f64 v[8:9], v[14:15], s[34:35]
	v_rndne_f64_e32 v[8:9], v[8:9]
	v_fma_f64 v[26:27], s[30:31], v[8:9], v[14:15]
	v_fmac_f64_e32 v[26:27], s[6:7], v[8:9]
	v_fma_f64 v[30:31], s[8:9], v[26:27], v[4:5]
	v_fma_f64 v[30:31], v[26:27], v[30:31], s[10:11]
	;; [unrolled: 1-line block ×9, first 2 shown]
	v_fma_f64 v[30:31], v[26:27], v[30:31], 1.0
	v_fma_f64 v[26:27], v[26:27], v[30:31], 1.0
	v_cvt_i32_f64_e32 v8, v[8:9]
	v_ldexp_f64 v[8:9], v[26:27], v8
	v_cmp_nlt_f64_e32 vcc, s[2:3], v[14:15]
	v_cmp_ngt_f64_e64 s[0:1], s[4:5], v[14:15]
	v_cndmask_b32_e32 v9, v28, v9, vcc
	s_and_b64 vcc, s[0:1], vcc
	v_cndmask_b32_e64 v9, 0, v9, s[0:1]
	v_cndmask_b32_e32 v8, 0, v8, vcc
	v_mul_f64 v[8:9], v[8:9], v[6:7]
	v_cvt_f32_f64_e32 v8, v[8:9]
	v_sub_f32_e32 v9, v29, v8
	v_cmp_eq_u32_e32 vcc, 63, v0
	v_cndmask_b32_e64 v8, -v8, v9, vcc
	v_add_co_u32_e32 v12, vcc, s14, v12
	v_cvt_f64_f32_e32 v[8:9], v8
	v_addc_co_u32_e32 v13, vcc, v3, v13, vcc
	global_store_dwordx2 v[12:13], v[8:9], off
	s_waitcnt vmcnt(4)
	v_mul_f64 v[8:9], v[24:25], s[34:35]
	v_rndne_f64_e32 v[8:9], v[8:9]
	v_fma_f64 v[12:13], s[30:31], v[8:9], v[24:25]
	v_fmac_f64_e32 v[12:13], s[6:7], v[8:9]
	v_fma_f64 v[14:15], s[8:9], v[12:13], v[4:5]
	v_fma_f64 v[14:15], v[12:13], v[14:15], s[10:11]
	;; [unrolled: 1-line block ×9, first 2 shown]
	v_fma_f64 v[14:15], v[12:13], v[14:15], 1.0
	v_fma_f64 v[12:13], v[12:13], v[14:15], 1.0
	v_cvt_i32_f64_e32 v8, v[8:9]
	v_ldexp_f64 v[8:9], v[12:13], v8
	v_cmp_nlt_f64_e32 vcc, s[2:3], v[24:25]
	v_cmp_ngt_f64_e64 s[0:1], s[4:5], v[24:25]
	v_cndmask_b32_e32 v9, v28, v9, vcc
	s_and_b64 vcc, s[0:1], vcc
	v_cndmask_b32_e64 v9, 0, v9, s[0:1]
	v_cndmask_b32_e32 v8, 0, v8, vcc
	v_mul_f64 v[8:9], v[8:9], v[6:7]
	v_cvt_f32_f64_e32 v8, v[8:9]
	v_sub_f32_e32 v9, v29, v8
	v_cmp_eq_u32_e32 vcc, 64, v0
	v_cndmask_b32_e64 v8, -v8, v9, vcc
	v_add_co_u32_e32 v12, vcc, s14, v20
	v_cvt_f64_f32_e32 v[8:9], v8
	v_addc_co_u32_e32 v13, vcc, v3, v21, vcc
	global_store_dwordx2 v[12:13], v[8:9], off
	s_waitcnt vmcnt(4)
	v_mul_f64 v[8:9], v[22:23], s[34:35]
	v_rndne_f64_e32 v[14:15], v[8:9]
	v_fma_f64 v[8:9], s[30:31], v[14:15], v[22:23]
	v_fmac_f64_e32 v[8:9], s[6:7], v[14:15]
	v_fma_f64 v[12:13], s[8:9], v[8:9], v[4:5]
	v_fma_f64 v[12:13], v[8:9], v[12:13], s[10:11]
	;; [unrolled: 1-line block ×9, first 2 shown]
	v_fma_f64 v[12:13], v[8:9], v[12:13], 1.0
	v_fma_f64 v[20:21], v[8:9], v[12:13], 1.0
	v_add_u32_e32 v8, 0x8ed54, v2
	v_ashrrev_i32_e32 v9, 31, v8
	v_lshlrev_b64 v[8:9], 3, v[8:9]
	v_add_co_u32_e32 v12, vcc, s16, v8
	v_addc_co_u32_e32 v13, vcc, v1, v9, vcc
	global_load_dwordx2 v[12:13], v[12:13], off
	v_cvt_i32_f64_e32 v14, v[14:15]
	v_ldexp_f64 v[14:15], v[20:21], v14
	v_cmp_nlt_f64_e32 vcc, s[2:3], v[22:23]
	v_cmp_ngt_f64_e64 s[0:1], s[4:5], v[22:23]
	v_cndmask_b32_e32 v15, v28, v15, vcc
	s_and_b64 vcc, s[0:1], vcc
	v_cndmask_b32_e64 v15, 0, v15, s[0:1]
	v_cndmask_b32_e32 v14, 0, v14, vcc
	v_mul_f64 v[14:15], v[14:15], v[6:7]
	v_cvt_f32_f64_e32 v14, v[14:15]
	s_movk_i32 s0, 0x41
	v_sub_f32_e32 v15, v29, v14
	v_cmp_eq_u32_e32 vcc, s0, v0
	v_cndmask_b32_e64 v14, -v14, v15, vcc
	v_add_co_u32_e32 v18, vcc, s14, v18
	v_cvt_f64_f32_e32 v[14:15], v14
	v_addc_co_u32_e32 v19, vcc, v3, v19, vcc
	global_store_dwordx2 v[18:19], v[14:15], off
	s_waitcnt vmcnt(4)
	v_mul_f64 v[14:15], v[16:17], s[34:35]
	v_rndne_f64_e32 v[14:15], v[14:15]
	v_fma_f64 v[18:19], s[30:31], v[14:15], v[16:17]
	v_fmac_f64_e32 v[18:19], s[6:7], v[14:15]
	v_fma_f64 v[20:21], s[8:9], v[18:19], v[4:5]
	v_fma_f64 v[20:21], v[18:19], v[20:21], s[10:11]
	;; [unrolled: 1-line block ×3, first 2 shown]
	v_add_u32_e32 v20, 0x90f70, v2
	v_ashrrev_i32_e32 v21, 31, v20
	v_lshlrev_b64 v[20:21], 3, v[20:21]
	v_add_co_u32_e32 v24, vcc, s16, v20
	v_addc_co_u32_e32 v25, vcc, v1, v21, vcc
	global_load_dwordx2 v[24:25], v[24:25], off
	v_fma_f64 v[22:23], v[18:19], v[22:23], s[18:19]
	v_fma_f64 v[22:23], v[18:19], v[22:23], s[20:21]
	v_fma_f64 v[22:23], v[18:19], v[22:23], s[22:23]
	v_fma_f64 v[22:23], v[18:19], v[22:23], s[24:25]
	v_fma_f64 v[22:23], v[18:19], v[22:23], s[26:27]
	v_fma_f64 v[22:23], v[18:19], v[22:23], s[28:29]
	v_fma_f64 v[22:23], v[18:19], v[22:23], 1.0
	v_fma_f64 v[18:19], v[18:19], v[22:23], 1.0
	v_cvt_i32_f64_e32 v14, v[14:15]
	v_ldexp_f64 v[14:15], v[18:19], v14
	v_cmp_nlt_f64_e32 vcc, s[2:3], v[16:17]
	v_cmp_ngt_f64_e64 s[0:1], s[4:5], v[16:17]
	v_cndmask_b32_e32 v15, v28, v15, vcc
	s_and_b64 vcc, s[0:1], vcc
	v_cndmask_b32_e64 v15, 0, v15, s[0:1]
	v_cndmask_b32_e32 v14, 0, v14, vcc
	v_mul_f64 v[14:15], v[14:15], v[6:7]
	v_cvt_f32_f64_e32 v14, v[14:15]
	s_movk_i32 s0, 0x42
	v_sub_f32_e32 v15, v29, v14
	v_cmp_eq_u32_e32 vcc, s0, v0
	v_add_u32_e32 v16, 0x9318c, v2
	v_cndmask_b32_e64 v14, -v14, v15, vcc
	v_add_co_u32_e32 v10, vcc, s14, v10
	v_ashrrev_i32_e32 v17, 31, v16
	v_addc_co_u32_e32 v11, vcc, v3, v11, vcc
	v_lshlrev_b64 v[18:19], 3, v[16:17]
	v_add_co_u32_e32 v16, vcc, s16, v18
	v_addc_co_u32_e32 v17, vcc, v1, v19, vcc
	global_load_dwordx2 v[22:23], v[16:17], off
	v_cvt_f64_f32_e32 v[14:15], v14
	global_store_dwordx2 v[10:11], v[14:15], off
	v_add_u32_e32 v10, 0x953a8, v2
	v_ashrrev_i32_e32 v11, 31, v10
	v_lshlrev_b64 v[10:11], 3, v[10:11]
	v_add_co_u32_e32 v14, vcc, s16, v10
	v_addc_co_u32_e32 v15, vcc, v1, v11, vcc
	global_load_dwordx2 v[14:15], v[14:15], off
	s_waitcnt vmcnt(5)
	v_mul_f64 v[16:17], v[12:13], s[34:35]
	v_rndne_f64_e32 v[16:17], v[16:17]
	v_fma_f64 v[26:27], s[30:31], v[16:17], v[12:13]
	v_fmac_f64_e32 v[26:27], s[6:7], v[16:17]
	v_fma_f64 v[30:31], s[8:9], v[26:27], v[4:5]
	v_fma_f64 v[30:31], v[26:27], v[30:31], s[10:11]
	;; [unrolled: 1-line block ×9, first 2 shown]
	v_fma_f64 v[30:31], v[26:27], v[30:31], 1.0
	v_fma_f64 v[26:27], v[26:27], v[30:31], 1.0
	v_cvt_i32_f64_e32 v16, v[16:17]
	v_ldexp_f64 v[16:17], v[26:27], v16
	v_cmp_nlt_f64_e32 vcc, s[2:3], v[12:13]
	v_cmp_ngt_f64_e64 s[0:1], s[4:5], v[12:13]
	v_cndmask_b32_e32 v17, v28, v17, vcc
	s_and_b64 vcc, s[0:1], vcc
	v_cndmask_b32_e64 v13, 0, v17, s[0:1]
	v_cndmask_b32_e32 v12, 0, v16, vcc
	v_mul_f64 v[12:13], v[12:13], v[6:7]
	v_cvt_f32_f64_e32 v12, v[12:13]
	s_movk_i32 s0, 0x43
	v_sub_f32_e32 v13, v29, v12
	v_cmp_eq_u32_e32 vcc, s0, v0
	v_cndmask_b32_e64 v12, -v12, v13, vcc
	v_add_co_u32_e32 v8, vcc, s14, v8
	v_cvt_f64_f32_e32 v[12:13], v12
	v_addc_co_u32_e32 v9, vcc, v3, v9, vcc
	global_store_dwordx2 v[8:9], v[12:13], off
	s_waitcnt vmcnt(4)
	v_mul_f64 v[8:9], v[24:25], s[34:35]
	v_rndne_f64_e32 v[8:9], v[8:9]
	v_fma_f64 v[12:13], s[30:31], v[8:9], v[24:25]
	v_fmac_f64_e32 v[12:13], s[6:7], v[8:9]
	v_fma_f64 v[16:17], s[8:9], v[12:13], v[4:5]
	v_fma_f64 v[16:17], v[12:13], v[16:17], s[10:11]
	;; [unrolled: 1-line block ×9, first 2 shown]
	v_fma_f64 v[16:17], v[12:13], v[16:17], 1.0
	v_fma_f64 v[12:13], v[12:13], v[16:17], 1.0
	v_cvt_i32_f64_e32 v8, v[8:9]
	v_ldexp_f64 v[8:9], v[12:13], v8
	v_cmp_nlt_f64_e32 vcc, s[2:3], v[24:25]
	v_cmp_ngt_f64_e64 s[0:1], s[4:5], v[24:25]
	v_cndmask_b32_e32 v9, v28, v9, vcc
	s_and_b64 vcc, s[0:1], vcc
	v_cndmask_b32_e64 v9, 0, v9, s[0:1]
	v_cndmask_b32_e32 v8, 0, v8, vcc
	v_mul_f64 v[8:9], v[8:9], v[6:7]
	v_cvt_f32_f64_e32 v8, v[8:9]
	s_movk_i32 s0, 0x44
	v_sub_f32_e32 v9, v29, v8
	v_cmp_eq_u32_e32 vcc, s0, v0
	v_cndmask_b32_e64 v8, -v8, v9, vcc
	v_add_co_u32_e32 v12, vcc, s14, v20
	v_cvt_f64_f32_e32 v[8:9], v8
	v_addc_co_u32_e32 v13, vcc, v3, v21, vcc
	global_store_dwordx2 v[12:13], v[8:9], off
	s_waitcnt vmcnt(4)
	v_mul_f64 v[8:9], v[22:23], s[34:35]
	v_rndne_f64_e32 v[12:13], v[8:9]
	v_fma_f64 v[8:9], s[30:31], v[12:13], v[22:23]
	v_fmac_f64_e32 v[8:9], s[6:7], v[12:13]
	v_fma_f64 v[16:17], s[8:9], v[8:9], v[4:5]
	v_fma_f64 v[16:17], v[8:9], v[16:17], s[10:11]
	;; [unrolled: 1-line block ×9, first 2 shown]
	v_fma_f64 v[16:17], v[8:9], v[16:17], 1.0
	v_fma_f64 v[20:21], v[8:9], v[16:17], 1.0
	v_add_u32_e32 v8, 0x975c4, v2
	v_ashrrev_i32_e32 v9, 31, v8
	v_lshlrev_b64 v[8:9], 3, v[8:9]
	v_add_co_u32_e32 v16, vcc, s16, v8
	v_addc_co_u32_e32 v17, vcc, v1, v9, vcc
	global_load_dwordx2 v[16:17], v[16:17], off
	v_cvt_i32_f64_e32 v12, v[12:13]
	v_ldexp_f64 v[12:13], v[20:21], v12
	v_cmp_nlt_f64_e32 vcc, s[2:3], v[22:23]
	v_cmp_ngt_f64_e64 s[0:1], s[4:5], v[22:23]
	v_cndmask_b32_e32 v13, v28, v13, vcc
	s_and_b64 vcc, s[0:1], vcc
	v_cndmask_b32_e64 v13, 0, v13, s[0:1]
	v_cndmask_b32_e32 v12, 0, v12, vcc
	v_mul_f64 v[12:13], v[12:13], v[6:7]
	v_cvt_f32_f64_e32 v12, v[12:13]
	s_movk_i32 s0, 0x45
	v_sub_f32_e32 v13, v29, v12
	v_cmp_eq_u32_e32 vcc, s0, v0
	v_add_u32_e32 v22, 0x997e0, v2
	v_cndmask_b32_e64 v12, -v12, v13, vcc
	v_add_co_u32_e32 v18, vcc, s14, v18
	v_ashrrev_i32_e32 v23, 31, v22
	v_cvt_f64_f32_e32 v[12:13], v12
	v_addc_co_u32_e32 v19, vcc, v3, v19, vcc
	v_lshlrev_b64 v[22:23], 3, v[22:23]
	global_store_dwordx2 v[18:19], v[12:13], off
	s_waitcnt vmcnt(4)
	v_mul_f64 v[12:13], v[14:15], s[34:35]
	v_add_co_u32_e32 v24, vcc, s16, v22
	v_rndne_f64_e32 v[12:13], v[12:13]
	v_addc_co_u32_e32 v25, vcc, v1, v23, vcc
	global_load_dwordx2 v[26:27], v[24:25], off
	v_fma_f64 v[18:19], s[30:31], v[12:13], v[14:15]
	v_fmac_f64_e32 v[18:19], s[6:7], v[12:13]
	v_fma_f64 v[20:21], s[8:9], v[18:19], v[4:5]
	v_fma_f64 v[20:21], v[18:19], v[20:21], s[10:11]
	;; [unrolled: 1-line block ×9, first 2 shown]
	v_fma_f64 v[20:21], v[18:19], v[20:21], 1.0
	v_fma_f64 v[18:19], v[18:19], v[20:21], 1.0
	v_cvt_i32_f64_e32 v12, v[12:13]
	v_ldexp_f64 v[12:13], v[18:19], v12
	v_cmp_nlt_f64_e32 vcc, s[2:3], v[14:15]
	v_cmp_ngt_f64_e64 s[0:1], s[4:5], v[14:15]
	v_cndmask_b32_e32 v13, v28, v13, vcc
	s_and_b64 vcc, s[0:1], vcc
	v_cndmask_b32_e64 v13, 0, v13, s[0:1]
	v_cndmask_b32_e32 v12, 0, v12, vcc
	v_mul_f64 v[12:13], v[12:13], v[6:7]
	v_cvt_f32_f64_e32 v12, v[12:13]
	s_movk_i32 s0, 0x46
	v_sub_f32_e32 v13, v29, v12
	v_cmp_eq_u32_e32 vcc, s0, v0
	v_add_u32_e32 v14, 0x9b9fc, v2
	v_cndmask_b32_e64 v12, -v12, v13, vcc
	v_add_co_u32_e32 v10, vcc, s14, v10
	v_ashrrev_i32_e32 v15, 31, v14
	v_addc_co_u32_e32 v11, vcc, v3, v11, vcc
	v_lshlrev_b64 v[20:21], 3, v[14:15]
	v_add_co_u32_e32 v14, vcc, s16, v20
	v_addc_co_u32_e32 v15, vcc, v1, v21, vcc
	global_load_dwordx2 v[24:25], v[14:15], off
	v_cvt_f64_f32_e32 v[12:13], v12
	global_store_dwordx2 v[10:11], v[12:13], off
	v_add_u32_e32 v10, 0x9dc18, v2
	v_ashrrev_i32_e32 v11, 31, v10
	v_lshlrev_b64 v[12:13], 3, v[10:11]
	v_add_co_u32_e32 v10, vcc, s16, v12
	v_addc_co_u32_e32 v11, vcc, v1, v13, vcc
	global_load_dwordx2 v[18:19], v[10:11], off
	s_waitcnt vmcnt(5)
	v_mul_f64 v[10:11], v[16:17], s[34:35]
	v_rndne_f64_e32 v[10:11], v[10:11]
	v_fma_f64 v[14:15], s[30:31], v[10:11], v[16:17]
	v_fmac_f64_e32 v[14:15], s[6:7], v[10:11]
	v_fma_f64 v[30:31], s[8:9], v[14:15], v[4:5]
	v_fma_f64 v[30:31], v[14:15], v[30:31], s[10:11]
	;; [unrolled: 1-line block ×9, first 2 shown]
	v_fma_f64 v[30:31], v[14:15], v[30:31], 1.0
	v_fma_f64 v[14:15], v[14:15], v[30:31], 1.0
	v_cvt_i32_f64_e32 v10, v[10:11]
	v_ldexp_f64 v[10:11], v[14:15], v10
	v_cmp_nlt_f64_e32 vcc, s[2:3], v[16:17]
	v_cmp_ngt_f64_e64 s[0:1], s[4:5], v[16:17]
	v_cndmask_b32_e32 v11, v28, v11, vcc
	s_and_b64 vcc, s[0:1], vcc
	v_cndmask_b32_e64 v11, 0, v11, s[0:1]
	v_cndmask_b32_e32 v10, 0, v10, vcc
	v_mul_f64 v[10:11], v[10:11], v[6:7]
	v_cvt_f32_f64_e32 v10, v[10:11]
	s_movk_i32 s0, 0x47
	v_sub_f32_e32 v11, v29, v10
	v_cmp_eq_u32_e32 vcc, s0, v0
	v_cndmask_b32_e64 v10, -v10, v11, vcc
	v_add_co_u32_e32 v8, vcc, s14, v8
	v_cvt_f64_f32_e32 v[10:11], v10
	v_addc_co_u32_e32 v9, vcc, v3, v9, vcc
	global_store_dwordx2 v[8:9], v[10:11], off
	s_waitcnt vmcnt(4)
	v_mul_f64 v[8:9], v[26:27], s[34:35]
	v_rndne_f64_e32 v[8:9], v[8:9]
	v_fma_f64 v[10:11], s[30:31], v[8:9], v[26:27]
	v_fmac_f64_e32 v[10:11], s[6:7], v[8:9]
	v_fma_f64 v[14:15], s[8:9], v[10:11], v[4:5]
	v_fma_f64 v[14:15], v[10:11], v[14:15], s[10:11]
	;; [unrolled: 1-line block ×9, first 2 shown]
	v_fma_f64 v[14:15], v[10:11], v[14:15], 1.0
	v_fma_f64 v[10:11], v[10:11], v[14:15], 1.0
	v_cvt_i32_f64_e32 v8, v[8:9]
	v_ldexp_f64 v[8:9], v[10:11], v8
	v_cmp_nlt_f64_e32 vcc, s[2:3], v[26:27]
	v_cmp_ngt_f64_e64 s[0:1], s[4:5], v[26:27]
	v_cndmask_b32_e32 v9, v28, v9, vcc
	s_and_b64 vcc, s[0:1], vcc
	v_cndmask_b32_e64 v9, 0, v9, s[0:1]
	v_cndmask_b32_e32 v8, 0, v8, vcc
	v_mul_f64 v[8:9], v[8:9], v[6:7]
	v_cvt_f32_f64_e32 v8, v[8:9]
	s_movk_i32 s0, 0x48
	v_sub_f32_e32 v9, v29, v8
	v_cmp_eq_u32_e32 vcc, s0, v0
	v_cndmask_b32_e64 v8, -v8, v9, vcc
	v_add_co_u32_e32 v10, vcc, s14, v22
	v_cvt_f64_f32_e32 v[8:9], v8
	v_addc_co_u32_e32 v11, vcc, v3, v23, vcc
	global_store_dwordx2 v[10:11], v[8:9], off
	s_waitcnt vmcnt(4)
	v_mul_f64 v[8:9], v[24:25], s[34:35]
	v_rndne_f64_e32 v[8:9], v[8:9]
	v_fma_f64 v[10:11], s[30:31], v[8:9], v[24:25]
	v_fmac_f64_e32 v[10:11], s[6:7], v[8:9]
	v_fma_f64 v[14:15], s[8:9], v[10:11], v[4:5]
	v_fma_f64 v[14:15], v[10:11], v[14:15], s[10:11]
	;; [unrolled: 1-line block ×9, first 2 shown]
	v_fma_f64 v[14:15], v[10:11], v[14:15], 1.0
	v_fma_f64 v[16:17], v[10:11], v[14:15], 1.0
	v_add_u32_e32 v10, 0x9fe34, v2
	v_ashrrev_i32_e32 v11, 31, v10
	v_lshlrev_b64 v[10:11], 3, v[10:11]
	v_add_co_u32_e32 v14, vcc, s16, v10
	v_addc_co_u32_e32 v15, vcc, v1, v11, vcc
	global_load_dwordx2 v[14:15], v[14:15], off
	v_cvt_i32_f64_e32 v8, v[8:9]
	v_ldexp_f64 v[8:9], v[16:17], v8
	v_cmp_nlt_f64_e32 vcc, s[2:3], v[24:25]
	v_cmp_ngt_f64_e64 s[0:1], s[4:5], v[24:25]
	v_cndmask_b32_e32 v9, v28, v9, vcc
	s_and_b64 vcc, s[0:1], vcc
	v_cndmask_b32_e64 v9, 0, v9, s[0:1]
	v_cndmask_b32_e32 v8, 0, v8, vcc
	v_mul_f64 v[8:9], v[8:9], v[6:7]
	v_cvt_f32_f64_e32 v8, v[8:9]
	s_movk_i32 s0, 0x49
	v_sub_f32_e32 v9, v29, v8
	v_cmp_eq_u32_e32 vcc, s0, v0
	v_cndmask_b32_e64 v8, -v8, v9, vcc
	v_add_co_u32_e32 v16, vcc, s14, v20
	v_cvt_f64_f32_e32 v[8:9], v8
	v_addc_co_u32_e32 v17, vcc, v3, v21, vcc
	global_store_dwordx2 v[16:17], v[8:9], off
	s_waitcnt vmcnt(4)
	v_mul_f64 v[8:9], v[18:19], s[34:35]
	v_rndne_f64_e32 v[8:9], v[8:9]
	v_fma_f64 v[16:17], s[30:31], v[8:9], v[18:19]
	v_fmac_f64_e32 v[16:17], s[6:7], v[8:9]
	v_fma_f64 v[20:21], s[8:9], v[16:17], v[4:5]
	v_fma_f64 v[20:21], v[16:17], v[20:21], s[10:11]
	;; [unrolled: 1-line block ×3, first 2 shown]
	v_add_u32_e32 v20, 0xa2050, v2
	v_ashrrev_i32_e32 v21, 31, v20
	v_lshlrev_b64 v[20:21], 3, v[20:21]
	v_add_co_u32_e32 v22, vcc, s16, v20
	v_addc_co_u32_e32 v23, vcc, v1, v21, vcc
	global_load_dwordx2 v[22:23], v[22:23], off
	v_fma_f64 v[24:25], v[16:17], v[24:25], s[18:19]
	v_fma_f64 v[24:25], v[16:17], v[24:25], s[20:21]
	;; [unrolled: 1-line block ×6, first 2 shown]
	v_fma_f64 v[24:25], v[16:17], v[24:25], 1.0
	v_fma_f64 v[16:17], v[16:17], v[24:25], 1.0
	v_cvt_i32_f64_e32 v8, v[8:9]
	v_ldexp_f64 v[8:9], v[16:17], v8
	v_cmp_nlt_f64_e32 vcc, s[2:3], v[18:19]
	v_cmp_ngt_f64_e64 s[0:1], s[4:5], v[18:19]
	v_cndmask_b32_e32 v9, v28, v9, vcc
	s_and_b64 vcc, s[0:1], vcc
	v_cndmask_b32_e64 v9, 0, v9, s[0:1]
	v_cndmask_b32_e32 v8, 0, v8, vcc
	v_mul_f64 v[8:9], v[8:9], v[6:7]
	v_cvt_f32_f64_e32 v8, v[8:9]
	s_movk_i32 s0, 0x4a
	v_sub_f32_e32 v9, v29, v8
	v_cmp_eq_u32_e32 vcc, s0, v0
	v_cndmask_b32_e64 v8, -v8, v9, vcc
	v_add_co_u32_e32 v12, vcc, s14, v12
	v_cvt_f64_f32_e32 v[8:9], v8
	v_addc_co_u32_e32 v13, vcc, v3, v13, vcc
	global_store_dwordx2 v[12:13], v[8:9], off
	v_add_u32_e32 v8, 0xa426c, v2
	v_ashrrev_i32_e32 v9, 31, v8
	v_lshlrev_b64 v[8:9], 3, v[8:9]
	v_add_u32_e32 v12, 0xa6488, v2
	v_add_co_u32_e32 v24, vcc, s16, v8
	v_ashrrev_i32_e32 v13, 31, v12
	v_addc_co_u32_e32 v25, vcc, v1, v9, vcc
	v_lshlrev_b64 v[12:13], 3, v[12:13]
	v_add_co_u32_e32 v26, vcc, s16, v12
	v_addc_co_u32_e32 v27, vcc, v1, v13, vcc
	global_load_dwordx2 v[18:19], v[24:25], off
	global_load_dwordx2 v[16:17], v[26:27], off
	s_waitcnt vmcnt(5)
	v_mul_f64 v[24:25], v[14:15], s[34:35]
	v_rndne_f64_e32 v[24:25], v[24:25]
	v_fma_f64 v[26:27], s[30:31], v[24:25], v[14:15]
	v_fmac_f64_e32 v[26:27], s[6:7], v[24:25]
	v_fma_f64 v[30:31], s[8:9], v[26:27], v[4:5]
	v_fma_f64 v[30:31], v[26:27], v[30:31], s[10:11]
	;; [unrolled: 1-line block ×9, first 2 shown]
	v_fma_f64 v[30:31], v[26:27], v[30:31], 1.0
	v_fma_f64 v[26:27], v[26:27], v[30:31], 1.0
	v_cvt_i32_f64_e32 v24, v[24:25]
	v_ldexp_f64 v[24:25], v[26:27], v24
	v_cmp_nlt_f64_e32 vcc, s[2:3], v[14:15]
	v_cmp_ngt_f64_e64 s[0:1], s[4:5], v[14:15]
	v_cndmask_b32_e32 v25, v28, v25, vcc
	s_and_b64 vcc, s[0:1], vcc
	v_cndmask_b32_e64 v15, 0, v25, s[0:1]
	v_cndmask_b32_e32 v14, 0, v24, vcc
	v_mul_f64 v[14:15], v[14:15], v[6:7]
	v_cvt_f32_f64_e32 v14, v[14:15]
	s_movk_i32 s0, 0x4b
	v_sub_f32_e32 v15, v29, v14
	v_cmp_eq_u32_e32 vcc, s0, v0
	v_cndmask_b32_e64 v14, -v14, v15, vcc
	v_add_co_u32_e32 v10, vcc, s14, v10
	v_cvt_f64_f32_e32 v[14:15], v14
	v_addc_co_u32_e32 v11, vcc, v3, v11, vcc
	global_store_dwordx2 v[10:11], v[14:15], off
	s_waitcnt vmcnt(4)
	v_mul_f64 v[10:11], v[22:23], s[34:35]
	v_rndne_f64_e32 v[10:11], v[10:11]
	v_fma_f64 v[14:15], s[30:31], v[10:11], v[22:23]
	v_fmac_f64_e32 v[14:15], s[6:7], v[10:11]
	v_fma_f64 v[24:25], s[8:9], v[14:15], v[4:5]
	v_fma_f64 v[24:25], v[14:15], v[24:25], s[10:11]
	v_fma_f64 v[24:25], v[14:15], v[24:25], s[12:13]
	v_fma_f64 v[24:25], v[14:15], v[24:25], s[18:19]
	v_fma_f64 v[24:25], v[14:15], v[24:25], s[20:21]
	v_fma_f64 v[24:25], v[14:15], v[24:25], s[22:23]
	v_fma_f64 v[24:25], v[14:15], v[24:25], s[24:25]
	v_fma_f64 v[24:25], v[14:15], v[24:25], s[26:27]
	v_fma_f64 v[24:25], v[14:15], v[24:25], s[28:29]
	v_fma_f64 v[24:25], v[14:15], v[24:25], 1.0
	v_fma_f64 v[14:15], v[14:15], v[24:25], 1.0
	v_cvt_i32_f64_e32 v10, v[10:11]
	v_ldexp_f64 v[10:11], v[14:15], v10
	v_cmp_nlt_f64_e32 vcc, s[2:3], v[22:23]
	v_cmp_ngt_f64_e64 s[0:1], s[4:5], v[22:23]
	v_cndmask_b32_e32 v11, v28, v11, vcc
	s_and_b64 vcc, s[0:1], vcc
	v_cndmask_b32_e64 v11, 0, v11, s[0:1]
	v_cndmask_b32_e32 v10, 0, v10, vcc
	v_mul_f64 v[10:11], v[10:11], v[6:7]
	v_cvt_f32_f64_e32 v10, v[10:11]
	s_movk_i32 s0, 0x4c
	v_sub_f32_e32 v11, v29, v10
	v_cmp_eq_u32_e32 vcc, s0, v0
	v_cndmask_b32_e64 v10, -v10, v11, vcc
	v_cvt_f64_f32_e32 v[22:23], v10
	v_add_u32_e32 v10, 0xa86a4, v2
	v_add_co_u32_e32 v20, vcc, s14, v20
	v_ashrrev_i32_e32 v11, 31, v10
	v_addc_co_u32_e32 v21, vcc, v3, v21, vcc
	v_lshlrev_b64 v[10:11], 3, v[10:11]
	v_add_co_u32_e32 v14, vcc, s16, v10
	v_addc_co_u32_e32 v15, vcc, v1, v11, vcc
	global_store_dwordx2 v[20:21], v[22:23], off
	s_waitcnt vmcnt(3)
	v_mul_f64 v[20:21], v[18:19], s[34:35]
	global_load_dwordx2 v[14:15], v[14:15], off
	v_rndne_f64_e32 v[20:21], v[20:21]
	v_fma_f64 v[22:23], s[30:31], v[20:21], v[18:19]
	v_fmac_f64_e32 v[22:23], s[6:7], v[20:21]
	v_fma_f64 v[24:25], s[8:9], v[22:23], v[4:5]
	v_fma_f64 v[24:25], v[22:23], v[24:25], s[10:11]
	;; [unrolled: 1-line block ×9, first 2 shown]
	v_fma_f64 v[24:25], v[22:23], v[24:25], 1.0
	v_fma_f64 v[22:23], v[22:23], v[24:25], 1.0
	v_cvt_i32_f64_e32 v20, v[20:21]
	v_ldexp_f64 v[20:21], v[22:23], v20
	v_cmp_nlt_f64_e32 vcc, s[2:3], v[18:19]
	v_cmp_ngt_f64_e64 s[0:1], s[4:5], v[18:19]
	v_cndmask_b32_e32 v21, v28, v21, vcc
	s_and_b64 vcc, s[0:1], vcc
	v_cndmask_b32_e64 v19, 0, v21, s[0:1]
	v_cndmask_b32_e32 v18, 0, v20, vcc
	v_mul_f64 v[18:19], v[18:19], v[6:7]
	v_cvt_f32_f64_e32 v22, v[18:19]
	v_add_u32_e32 v18, 0xaa8c0, v2
	v_ashrrev_i32_e32 v19, 31, v18
	v_lshlrev_b64 v[18:19], 3, v[18:19]
	v_add_co_u32_e32 v20, vcc, s16, v18
	v_addc_co_u32_e32 v21, vcc, v1, v19, vcc
	global_load_dwordx2 v[20:21], v[20:21], off
	s_movk_i32 s0, 0x4d
	v_sub_f32_e32 v1, v29, v22
	v_cmp_eq_u32_e32 vcc, s0, v0
	v_cndmask_b32_e64 v1, -v22, v1, vcc
	v_add_co_u32_e32 v8, vcc, s14, v8
	v_cvt_f64_f32_e32 v[22:23], v1
	v_addc_co_u32_e32 v9, vcc, v3, v9, vcc
	global_store_dwordx2 v[8:9], v[22:23], off
	s_waitcnt vmcnt(5)
	v_mul_f64 v[8:9], v[16:17], s[34:35]
	v_rndne_f64_e32 v[8:9], v[8:9]
	v_fma_f64 v[22:23], s[30:31], v[8:9], v[16:17]
	v_fmac_f64_e32 v[22:23], s[6:7], v[8:9]
	v_fma_f64 v[24:25], s[8:9], v[22:23], v[4:5]
	v_fma_f64 v[24:25], v[22:23], v[24:25], s[10:11]
	;; [unrolled: 1-line block ×9, first 2 shown]
	v_fma_f64 v[24:25], v[22:23], v[24:25], 1.0
	v_fma_f64 v[22:23], v[22:23], v[24:25], 1.0
	v_cvt_i32_f64_e32 v1, v[8:9]
	v_ldexp_f64 v[8:9], v[22:23], v1
	v_cmp_nlt_f64_e32 vcc, s[2:3], v[16:17]
	v_cmp_ngt_f64_e64 s[0:1], s[4:5], v[16:17]
	v_cndmask_b32_e32 v1, v28, v9, vcc
	s_and_b64 vcc, s[0:1], vcc
	v_cndmask_b32_e64 v9, 0, v1, s[0:1]
	v_cndmask_b32_e32 v8, 0, v8, vcc
	v_mul_f64 v[8:9], v[8:9], v[6:7]
	v_cvt_f32_f64_e32 v1, v[8:9]
	s_movk_i32 s0, 0x4e
	v_sub_f32_e32 v2, v29, v1
	v_cmp_eq_u32_e32 vcc, s0, v0
	v_cndmask_b32_e64 v1, -v1, v2, vcc
	v_add_co_u32_e32 v12, vcc, s14, v12
	v_cvt_f64_f32_e32 v[8:9], v1
	v_addc_co_u32_e32 v13, vcc, v3, v13, vcc
	global_store_dwordx2 v[12:13], v[8:9], off
	s_waitcnt vmcnt(3)
	v_mul_f64 v[8:9], v[14:15], s[34:35]
	v_rndne_f64_e32 v[8:9], v[8:9]
	v_fma_f64 v[12:13], s[30:31], v[8:9], v[14:15]
	v_fmac_f64_e32 v[12:13], s[6:7], v[8:9]
	v_fma_f64 v[16:17], s[8:9], v[12:13], v[4:5]
	v_fma_f64 v[16:17], v[12:13], v[16:17], s[10:11]
	;; [unrolled: 1-line block ×9, first 2 shown]
	v_fma_f64 v[16:17], v[12:13], v[16:17], 1.0
	v_fma_f64 v[12:13], v[12:13], v[16:17], 1.0
	v_cvt_i32_f64_e32 v1, v[8:9]
	v_ldexp_f64 v[8:9], v[12:13], v1
	v_cmp_nlt_f64_e32 vcc, s[2:3], v[14:15]
	v_cmp_ngt_f64_e64 s[0:1], s[4:5], v[14:15]
	v_cndmask_b32_e32 v1, v28, v9, vcc
	s_and_b64 vcc, s[0:1], vcc
	v_cndmask_b32_e64 v9, 0, v1, s[0:1]
	v_cndmask_b32_e32 v8, 0, v8, vcc
	v_mul_f64 v[8:9], v[8:9], v[6:7]
	v_cvt_f32_f64_e32 v1, v[8:9]
	s_movk_i32 s0, 0x4f
	v_sub_f32_e32 v2, v29, v1
	v_cmp_eq_u32_e32 vcc, s0, v0
	v_cndmask_b32_e64 v1, -v1, v2, vcc
	v_add_co_u32_e32 v10, vcc, s14, v10
	v_cvt_f64_f32_e32 v[8:9], v1
	v_addc_co_u32_e32 v11, vcc, v3, v11, vcc
	global_store_dwordx2 v[10:11], v[8:9], off
	s_waitcnt vmcnt(3)
	v_mul_f64 v[8:9], v[20:21], s[34:35]
	v_rndne_f64_e32 v[8:9], v[8:9]
	v_fma_f64 v[10:11], s[30:31], v[8:9], v[20:21]
	v_fmac_f64_e32 v[10:11], s[6:7], v[8:9]
	v_fmac_f64_e32 v[4:5], s[8:9], v[10:11]
	v_fma_f64 v[4:5], v[10:11], v[4:5], s[10:11]
	v_fma_f64 v[4:5], v[10:11], v[4:5], s[12:13]
	;; [unrolled: 1-line block ×8, first 2 shown]
	v_fma_f64 v[4:5], v[10:11], v[4:5], 1.0
	v_fma_f64 v[4:5], v[10:11], v[4:5], 1.0
	v_cvt_i32_f64_e32 v1, v[8:9]
	v_ldexp_f64 v[4:5], v[4:5], v1
	v_cmp_nlt_f64_e32 vcc, s[2:3], v[20:21]
	v_cmp_ngt_f64_e64 s[0:1], s[4:5], v[20:21]
	v_cndmask_b32_e32 v1, v28, v5, vcc
	s_and_b64 vcc, s[0:1], vcc
	v_cndmask_b32_e64 v5, 0, v1, s[0:1]
	v_cndmask_b32_e32 v4, 0, v4, vcc
	v_mul_f64 v[4:5], v[4:5], v[6:7]
	v_cvt_f32_f64_e32 v1, v[4:5]
	s_movk_i32 s0, 0x50
	v_sub_f32_e32 v2, v29, v1
	v_cmp_eq_u32_e32 vcc, s0, v0
	v_cndmask_b32_e64 v0, -v1, v2, vcc
	v_add_co_u32_e32 v2, vcc, s14, v18
	v_cvt_f64_f32_e32 v[0:1], v0
	v_addc_co_u32_e32 v3, vcc, v3, v19, vcc
	global_store_dwordx2 v[2:3], v[0:1], off
.LBB2_4:
	s_endpgm
	.section	.rodata,"a",@progbits
	.p2align	6, 0x0
	.amdhsa_kernel _Z8loss_bwdIddEvPKT_PKT0_S5_PKlS2_S7_PS3_
		.amdhsa_group_segment_fixed_size 0
		.amdhsa_private_segment_fixed_size 0
		.amdhsa_kernarg_size 56
		.amdhsa_user_sgpr_count 6
		.amdhsa_user_sgpr_private_segment_buffer 1
		.amdhsa_user_sgpr_dispatch_ptr 0
		.amdhsa_user_sgpr_queue_ptr 0
		.amdhsa_user_sgpr_kernarg_segment_ptr 1
		.amdhsa_user_sgpr_dispatch_id 0
		.amdhsa_user_sgpr_flat_scratch_init 0
		.amdhsa_user_sgpr_kernarg_preload_length 0
		.amdhsa_user_sgpr_kernarg_preload_offset 0
		.amdhsa_user_sgpr_private_segment_size 0
		.amdhsa_uses_dynamic_stack 0
		.amdhsa_system_sgpr_private_segment_wavefront_offset 0
		.amdhsa_system_sgpr_workgroup_id_x 1
		.amdhsa_system_sgpr_workgroup_id_y 1
		.amdhsa_system_sgpr_workgroup_id_z 0
		.amdhsa_system_sgpr_workgroup_info 0
		.amdhsa_system_vgpr_workitem_id 0
		.amdhsa_next_free_vgpr 32
		.amdhsa_next_free_sgpr 36
		.amdhsa_accum_offset 32
		.amdhsa_reserve_vcc 1
		.amdhsa_reserve_flat_scratch 0
		.amdhsa_float_round_mode_32 0
		.amdhsa_float_round_mode_16_64 0
		.amdhsa_float_denorm_mode_32 3
		.amdhsa_float_denorm_mode_16_64 3
		.amdhsa_dx10_clamp 1
		.amdhsa_ieee_mode 1
		.amdhsa_fp16_overflow 0
		.amdhsa_tg_split 0
		.amdhsa_exception_fp_ieee_invalid_op 0
		.amdhsa_exception_fp_denorm_src 0
		.amdhsa_exception_fp_ieee_div_zero 0
		.amdhsa_exception_fp_ieee_overflow 0
		.amdhsa_exception_fp_ieee_underflow 0
		.amdhsa_exception_fp_ieee_inexact 0
		.amdhsa_exception_int_div_zero 0
	.end_amdhsa_kernel
	.section	.text._Z8loss_bwdIddEvPKT_PKT0_S5_PKlS2_S7_PS3_,"axG",@progbits,_Z8loss_bwdIddEvPKT_PKT0_S5_PKlS2_S7_PS3_,comdat
.Lfunc_end2:
	.size	_Z8loss_bwdIddEvPKT_PKT0_S5_PKlS2_S7_PS3_, .Lfunc_end2-_Z8loss_bwdIddEvPKT_PKT0_S5_PKlS2_S7_PS3_
                                        ; -- End function
	.section	.AMDGPU.csdata,"",@progbits
; Kernel info:
; codeLenInByte = 20376
; NumSgprs: 40
; NumVgprs: 32
; NumAgprs: 0
; TotalNumVgprs: 32
; ScratchSize: 0
; MemoryBound: 0
; FloatMode: 240
; IeeeMode: 1
; LDSByteSize: 0 bytes/workgroup (compile time only)
; SGPRBlocks: 4
; VGPRBlocks: 3
; NumSGPRsForWavesPerEU: 40
; NumVGPRsForWavesPerEU: 32
; AccumOffset: 32
; Occupancy: 8
; WaveLimiterHint : 1
; COMPUTE_PGM_RSRC2:SCRATCH_EN: 0
; COMPUTE_PGM_RSRC2:USER_SGPR: 6
; COMPUTE_PGM_RSRC2:TRAP_HANDLER: 0
; COMPUTE_PGM_RSRC2:TGID_X_EN: 1
; COMPUTE_PGM_RSRC2:TGID_Y_EN: 1
; COMPUTE_PGM_RSRC2:TGID_Z_EN: 0
; COMPUTE_PGM_RSRC2:TIDIG_COMP_CNT: 0
; COMPUTE_PGM_RSRC3_GFX90A:ACCUM_OFFSET: 7
; COMPUTE_PGM_RSRC3_GFX90A:TG_SPLIT: 0
	.text
	.p2alignl 6, 3212836864
	.fill 256, 4, 3212836864
	.type	__hip_cuid_ee36e5be83757662,@object ; @__hip_cuid_ee36e5be83757662
	.section	.bss,"aw",@nobits
	.globl	__hip_cuid_ee36e5be83757662
__hip_cuid_ee36e5be83757662:
	.byte	0                               ; 0x0
	.size	__hip_cuid_ee36e5be83757662, 1

	.ident	"AMD clang version 19.0.0git (https://github.com/RadeonOpenCompute/llvm-project roc-6.4.0 25133 c7fe45cf4b819c5991fe208aaa96edf142730f1d)"
	.section	".note.GNU-stack","",@progbits
	.addrsig
	.addrsig_sym __hip_cuid_ee36e5be83757662
	.amdgpu_metadata
---
amdhsa.kernels:
  - .agpr_count:     0
    .args:
      - .actual_access:  read_only
        .address_space:  global
        .offset:         0
        .size:           8
        .value_kind:     global_buffer
      - .actual_access:  read_only
        .address_space:  global
        .offset:         8
        .size:           8
        .value_kind:     global_buffer
      - .actual_access:  read_only
        .address_space:  global
        .offset:         16
        .size:           8
        .value_kind:     global_buffer
      - .actual_access:  read_only
        .address_space:  global
        .offset:         24
        .size:           8
        .value_kind:     global_buffer
      - .actual_access:  read_only
        .address_space:  global
        .offset:         32
        .size:           8
        .value_kind:     global_buffer
      - .actual_access:  read_only
        .address_space:  global
        .offset:         40
        .size:           8
        .value_kind:     global_buffer
      - .actual_access:  write_only
        .address_space:  global
        .offset:         48
        .size:           8
        .value_kind:     global_buffer
    .group_segment_fixed_size: 0
    .kernarg_segment_align: 8
    .kernarg_segment_size: 56
    .language:       OpenCL C
    .language_version:
      - 2
      - 0
    .max_flat_workgroup_size: 1024
    .name:           _Z8loss_bwdI6__halfS0_EvPKT_PKT0_S6_PKlS3_S8_PS4_
    .private_segment_fixed_size: 0
    .sgpr_count:     20
    .sgpr_spill_count: 0
    .symbol:         _Z8loss_bwdI6__halfS0_EvPKT_PKT0_S6_PKlS3_S8_PS4_.kd
    .uniform_work_group_size: 1
    .uses_dynamic_stack: false
    .vgpr_count:     44
    .vgpr_spill_count: 0
    .wavefront_size: 64
  - .agpr_count:     0
    .args:
      - .actual_access:  read_only
        .address_space:  global
        .offset:         0
        .size:           8
        .value_kind:     global_buffer
      - .actual_access:  read_only
        .address_space:  global
        .offset:         8
        .size:           8
        .value_kind:     global_buffer
      - .actual_access:  read_only
        .address_space:  global
        .offset:         16
        .size:           8
        .value_kind:     global_buffer
      - .actual_access:  read_only
        .address_space:  global
        .offset:         24
        .size:           8
        .value_kind:     global_buffer
      - .actual_access:  read_only
        .address_space:  global
        .offset:         32
        .size:           8
        .value_kind:     global_buffer
      - .actual_access:  read_only
        .address_space:  global
        .offset:         40
        .size:           8
        .value_kind:     global_buffer
      - .actual_access:  write_only
        .address_space:  global
        .offset:         48
        .size:           8
        .value_kind:     global_buffer
    .group_segment_fixed_size: 0
    .kernarg_segment_align: 8
    .kernarg_segment_size: 56
    .language:       OpenCL C
    .language_version:
      - 2
      - 0
    .max_flat_workgroup_size: 1024
    .name:           _Z8loss_bwdIffEvPKT_PKT0_S5_PKlS2_S7_PS3_
    .private_segment_fixed_size: 0
    .sgpr_count:     20
    .sgpr_spill_count: 0
    .symbol:         _Z8loss_bwdIffEvPKT_PKT0_S5_PKlS2_S7_PS3_.kd
    .uniform_work_group_size: 1
    .uses_dynamic_stack: false
    .vgpr_count:     37
    .vgpr_spill_count: 0
    .wavefront_size: 64
  - .agpr_count:     0
    .args:
      - .actual_access:  read_only
        .address_space:  global
        .offset:         0
        .size:           8
        .value_kind:     global_buffer
      - .actual_access:  read_only
        .address_space:  global
        .offset:         8
        .size:           8
        .value_kind:     global_buffer
      - .actual_access:  read_only
        .address_space:  global
        .offset:         16
        .size:           8
        .value_kind:     global_buffer
      - .actual_access:  read_only
        .address_space:  global
        .offset:         24
        .size:           8
        .value_kind:     global_buffer
      - .actual_access:  read_only
        .address_space:  global
        .offset:         32
        .size:           8
        .value_kind:     global_buffer
      - .actual_access:  read_only
        .address_space:  global
        .offset:         40
        .size:           8
        .value_kind:     global_buffer
      - .actual_access:  write_only
        .address_space:  global
        .offset:         48
        .size:           8
        .value_kind:     global_buffer
    .group_segment_fixed_size: 0
    .kernarg_segment_align: 8
    .kernarg_segment_size: 56
    .language:       OpenCL C
    .language_version:
      - 2
      - 0
    .max_flat_workgroup_size: 1024
    .name:           _Z8loss_bwdIddEvPKT_PKT0_S5_PKlS2_S7_PS3_
    .private_segment_fixed_size: 0
    .sgpr_count:     40
    .sgpr_spill_count: 0
    .symbol:         _Z8loss_bwdIddEvPKT_PKT0_S5_PKlS2_S7_PS3_.kd
    .uniform_work_group_size: 1
    .uses_dynamic_stack: false
    .vgpr_count:     32
    .vgpr_spill_count: 0
    .wavefront_size: 64
amdhsa.target:   amdgcn-amd-amdhsa--gfx90a
amdhsa.version:
  - 1
  - 2
...

	.end_amdgpu_metadata
